;; amdgpu-corpus repo=ROCm/rocFFT kind=compiled arch=gfx906 opt=O3
	.text
	.amdgcn_target "amdgcn-amd-amdhsa--gfx906"
	.amdhsa_code_object_version 6
	.protected	bluestein_single_fwd_len300_dim1_half_op_CI_CI ; -- Begin function bluestein_single_fwd_len300_dim1_half_op_CI_CI
	.globl	bluestein_single_fwd_len300_dim1_half_op_CI_CI
	.p2align	8
	.type	bluestein_single_fwd_len300_dim1_half_op_CI_CI,@function
bluestein_single_fwd_len300_dim1_half_op_CI_CI: ; @bluestein_single_fwd_len300_dim1_half_op_CI_CI
; %bb.0:
	s_load_dwordx4 s[8:11], s[4:5], 0x28
	v_mul_u32_u24_e32 v1, 0x889, v0
	v_lshrrev_b32_e32 v1, 16, v1
	v_lshl_add_u32 v8, s6, 1, v1
	v_mov_b32_e32 v9, 0
	s_waitcnt lgkmcnt(0)
	v_cmp_gt_u64_e32 vcc, s[8:9], v[8:9]
	s_and_saveexec_b64 s[0:1], vcc
	s_cbranch_execz .LBB0_10
; %bb.1:
	s_load_dwordx4 s[0:3], s[4:5], 0x18
	s_load_dwordx4 s[12:15], s[4:5], 0x0
	v_mul_lo_u16_e32 v2, 30, v1
	v_sub_u16_e32 v38, v0, v2
	v_lshlrev_b32_e32 v41, 2, v38
	s_waitcnt lgkmcnt(0)
	s_load_dwordx4 s[16:19], s[0:1], 0x0
	global_load_dword v40, v41, s[12:13]
	s_movk_i32 s6, 0x38b4
	s_movk_i32 s7, 0x3a79
	s_load_dwordx2 s[4:5], s[4:5], 0x38
	s_waitcnt lgkmcnt(0)
	v_mad_u64_u32 v[2:3], s[0:1], s18, v8, 0
	v_mad_u64_u32 v[4:5], s[0:1], s16, v38, 0
	v_mov_b32_e32 v0, v3
	v_mov_b32_e32 v3, v5
	v_mad_u64_u32 v[5:6], s[0:1], s19, v8, v[0:1]
	v_mad_u64_u32 v[6:7], s[0:1], s17, v38, v[3:4]
	v_mov_b32_e32 v3, v5
	v_lshlrev_b64 v[2:3], 2, v[2:3]
	v_mov_b32_e32 v0, s11
	v_mov_b32_e32 v5, v6
	v_add_co_u32_e32 v6, vcc, s10, v2
	v_addc_co_u32_e32 v0, vcc, v0, v3, vcc
	v_lshlrev_b64 v[2:3], 2, v[4:5]
	s_mul_i32 s0, s17, 0x78
	v_add_co_u32_e32 v2, vcc, v6, v2
	v_addc_co_u32_e32 v3, vcc, v0, v3, vcc
	global_load_dword v0, v[2:3], off
	s_mul_hi_u32 s1, s16, 0x78
	s_add_i32 s0, s1, s0
	s_mul_i32 s1, s16, 0x78
	v_mov_b32_e32 v4, s0
	v_add_co_u32_e32 v2, vcc, s1, v2
	v_addc_co_u32_e32 v3, vcc, v3, v4, vcc
	global_load_dword v4, v[2:3], off
	global_load_dword v39, v41, s[12:13] offset:120
	v_mov_b32_e32 v5, s0
	v_add_co_u32_e32 v2, vcc, s1, v2
	v_addc_co_u32_e32 v3, vcc, v3, v5, vcc
	global_load_dword v5, v[2:3], off
	global_load_dword v37, v41, s[12:13] offset:240
	;; [unrolled: 5-line block ×9, first 2 shown]
	v_and_b32_e32 v1, 1, v1
	v_mov_b32_e32 v2, 0x12c
	v_cmp_eq_u32_e32 vcc, 1, v1
	v_cndmask_b32_e32 v1, 0, v2, vcc
	v_lshlrev_b32_e32 v43, 2, v1
	v_add_u32_e32 v31, v43, v41
	s_load_dwordx4 s[8:11], s[2:3], 0x0
	s_movk_i32 s3, 0x3b9c
	s_mov_b32 s1, 0xbb9c
	s_mov_b32 s0, 0xb8b4
	s_movk_i32 s2, 0x34f2
	s_movk_i32 s16, 0xcd
	s_waitcnt vmcnt(18)
	v_lshrrev_b32_e32 v1, 16, v0
	v_mul_f16_sdwa v2, v40, v1 dst_sel:DWORD dst_unused:UNUSED_PAD src0_sel:WORD_1 src1_sel:DWORD
	v_fma_f16 v2, v40, v0, v2
	v_mul_f16_sdwa v0, v40, v0 dst_sel:DWORD dst_unused:UNUSED_PAD src0_sel:WORD_1 src1_sel:DWORD
	v_fma_f16 v0, v40, v1, -v0
	v_pack_b32_f16 v0, v2, v0
	s_waitcnt vmcnt(17)
	v_lshrrev_b32_e32 v1, 16, v4
	s_waitcnt vmcnt(16)
	v_mul_f16_sdwa v2, v39, v1 dst_sel:DWORD dst_unused:UNUSED_PAD src0_sel:WORD_1 src1_sel:DWORD
	v_mul_f16_sdwa v3, v39, v4 dst_sel:DWORD dst_unused:UNUSED_PAD src0_sel:WORD_1 src1_sel:DWORD
	v_fma_f16 v2, v39, v4, v2
	v_fma_f16 v1, v39, v1, -v3
	v_pack_b32_f16 v1, v2, v1
	ds_write2_b32 v31, v0, v1 offset1:30
	s_waitcnt vmcnt(15)
	v_lshrrev_b32_e32 v0, 16, v5
	s_waitcnt vmcnt(14)
	v_mul_f16_sdwa v1, v37, v0 dst_sel:DWORD dst_unused:UNUSED_PAD src0_sel:WORD_1 src1_sel:DWORD
	v_mul_f16_sdwa v2, v37, v5 dst_sel:DWORD dst_unused:UNUSED_PAD src0_sel:WORD_1 src1_sel:DWORD
	v_fma_f16 v1, v37, v5, v1
	v_fma_f16 v0, v37, v0, -v2
	v_pack_b32_f16 v0, v1, v0
	s_waitcnt vmcnt(13)
	v_lshrrev_b32_e32 v1, 16, v6
	s_waitcnt vmcnt(12)
	v_mul_f16_sdwa v2, v36, v1 dst_sel:DWORD dst_unused:UNUSED_PAD src0_sel:WORD_1 src1_sel:DWORD
	v_mul_f16_sdwa v3, v36, v6 dst_sel:DWORD dst_unused:UNUSED_PAD src0_sel:WORD_1 src1_sel:DWORD
	v_fma_f16 v2, v36, v6, v2
	v_fma_f16 v1, v36, v1, -v3
	v_pack_b32_f16 v1, v2, v1
	ds_write2_b32 v31, v0, v1 offset0:60 offset1:90
	s_waitcnt vmcnt(11)
	v_lshrrev_b32_e32 v0, 16, v7
	s_waitcnt vmcnt(10)
	v_mul_f16_sdwa v1, v35, v0 dst_sel:DWORD dst_unused:UNUSED_PAD src0_sel:WORD_1 src1_sel:DWORD
	v_mul_f16_sdwa v2, v35, v7 dst_sel:DWORD dst_unused:UNUSED_PAD src0_sel:WORD_1 src1_sel:DWORD
	v_fma_f16 v1, v35, v7, v1
	v_fma_f16 v0, v35, v0, -v2
	v_pack_b32_f16 v0, v1, v0
	s_waitcnt vmcnt(9)
	v_lshrrev_b32_e32 v1, 16, v9
	s_waitcnt vmcnt(8)
	v_mul_f16_sdwa v2, v34, v1 dst_sel:DWORD dst_unused:UNUSED_PAD src0_sel:WORD_1 src1_sel:DWORD
	v_mul_f16_sdwa v3, v34, v9 dst_sel:DWORD dst_unused:UNUSED_PAD src0_sel:WORD_1 src1_sel:DWORD
	v_fma_f16 v2, v34, v9, v2
	v_fma_f16 v1, v34, v1, -v3
	v_pack_b32_f16 v1, v2, v1
	ds_write2_b32 v31, v0, v1 offset0:120 offset1:150
	;; [unrolled: 17-line block ×3, first 2 shown]
	s_waitcnt vmcnt(3)
	v_lshrrev_b32_e32 v0, 16, v12
	s_waitcnt vmcnt(2)
	v_mul_f16_sdwa v1, v30, v0 dst_sel:DWORD dst_unused:UNUSED_PAD src0_sel:WORD_1 src1_sel:DWORD
	v_mul_f16_sdwa v2, v30, v12 dst_sel:DWORD dst_unused:UNUSED_PAD src0_sel:WORD_1 src1_sel:DWORD
	v_fma_f16 v1, v30, v12, v1
	v_fma_f16 v0, v30, v0, -v2
	v_pack_b32_f16 v0, v1, v0
	s_waitcnt vmcnt(1)
	v_lshrrev_b32_e32 v1, 16, v13
	s_waitcnt vmcnt(0)
	v_mul_f16_sdwa v2, v29, v1 dst_sel:DWORD dst_unused:UNUSED_PAD src0_sel:WORD_1 src1_sel:DWORD
	v_mul_f16_sdwa v3, v29, v13 dst_sel:DWORD dst_unused:UNUSED_PAD src0_sel:WORD_1 src1_sel:DWORD
	v_fma_f16 v2, v29, v13, v2
	v_fma_f16 v1, v29, v1, -v3
	v_pack_b32_f16 v1, v2, v1
	v_add_u32_e32 v9, 0x200, v31
	ds_write2_b32 v9, v0, v1 offset0:112 offset1:142
	s_waitcnt lgkmcnt(0)
	; wave barrier
	s_waitcnt lgkmcnt(0)
	ds_read2_b32 v[0:1], v31 offset1:30
	ds_read2_b32 v[2:3], v31 offset0:120 offset1:150
	ds_read2_b32 v[4:5], v31 offset0:180 offset1:210
	ds_read2_b32 v[6:7], v31 offset0:60 offset1:90
	ds_read2_b32 v[10:11], v9 offset0:112 offset1:142
	v_mul_lo_u16_e32 v12, 10, v38
	v_lshl_add_u32 v42, v12, 2, v43
	s_waitcnt lgkmcnt(2)
	v_add_f16_e32 v12, v2, v4
	v_fma_f16 v12, v12, -0.5, v0
	s_waitcnt lgkmcnt(0)
	v_sub_f16_sdwa v13, v6, v10 dst_sel:DWORD dst_unused:UNUSED_PAD src0_sel:WORD_1 src1_sel:WORD_1
	v_fma_f16 v14, v13, s3, v12
	v_sub_f16_sdwa v15, v2, v4 dst_sel:DWORD dst_unused:UNUSED_PAD src0_sel:WORD_1 src1_sel:WORD_1
	v_sub_f16_e32 v16, v10, v4
	v_sub_f16_e32 v17, v6, v2
	v_fma_f16 v12, v13, s1, v12
	v_fma_f16 v14, v15, s6, v14
	v_add_f16_e32 v16, v17, v16
	v_fma_f16 v12, v15, s0, v12
	v_fma_f16 v14, v16, s2, v14
	;; [unrolled: 1-line block ×3, first 2 shown]
	v_add_f16_e32 v16, v6, v10
	v_fma_f16 v16, v16, -0.5, v0
	v_fma_f16 v17, v15, s1, v16
	v_sub_f16_e32 v18, v4, v10
	v_sub_f16_e32 v19, v2, v6
	v_fma_f16 v15, v15, s3, v16
	v_fma_f16 v17, v13, s6, v17
	v_add_f16_e32 v18, v19, v18
	v_fma_f16 v13, v13, s0, v15
	v_pk_add_f16 v15, v0, v6
	v_add_f16_sdwa v16, v2, v4 dst_sel:DWORD dst_unused:UNUSED_PAD src0_sel:WORD_1 src1_sel:WORD_1
	v_lshrrev_b32_e32 v0, 16, v0
	v_fma_f16 v17, v18, s2, v17
	v_fma_f16 v13, v18, s2, v13
	v_fma_f16 v16, v16, -0.5, v0
	v_sub_f16_e32 v18, v6, v10
	v_fma_f16 v19, v18, s1, v16
	v_sub_f16_e32 v20, v2, v4
	v_sub_f16_sdwa v21, v6, v2 dst_sel:DWORD dst_unused:UNUSED_PAD src0_sel:WORD_1 src1_sel:WORD_1
	v_sub_f16_sdwa v22, v10, v4 dst_sel:DWORD dst_unused:UNUSED_PAD src0_sel:WORD_1 src1_sel:WORD_1
	v_fma_f16 v16, v18, s3, v16
	v_fma_f16 v19, v20, s0, v19
	v_add_f16_e32 v21, v21, v22
	v_fma_f16 v16, v20, s6, v16
	v_fma_f16 v19, v21, s2, v19
	v_fma_f16 v16, v21, s2, v16
	v_add_f16_sdwa v21, v6, v10 dst_sel:DWORD dst_unused:UNUSED_PAD src0_sel:WORD_1 src1_sel:WORD_1
	v_pk_add_f16 v15, v15, v2
	v_fma_f16 v0, v21, -0.5, v0
	v_pk_add_f16 v15, v15, v4
	v_fma_f16 v21, v20, s3, v0
	v_sub_f16_sdwa v2, v2, v6 dst_sel:DWORD dst_unused:UNUSED_PAD src0_sel:WORD_1 src1_sel:WORD_1
	v_sub_f16_sdwa v4, v4, v10 dst_sel:DWORD dst_unused:UNUSED_PAD src0_sel:WORD_1 src1_sel:WORD_1
	v_fma_f16 v0, v20, s1, v0
	v_fma_f16 v21, v18, s0, v21
	v_add_f16_e32 v2, v2, v4
	v_fma_f16 v0, v18, s6, v0
	v_fma_f16 v4, v2, s2, v21
	;; [unrolled: 1-line block ×3, first 2 shown]
	v_add_f16_e32 v0, v3, v5
	v_fma_f16 v0, v0, -0.5, v1
	v_sub_f16_sdwa v6, v7, v11 dst_sel:DWORD dst_unused:UNUSED_PAD src0_sel:WORD_1 src1_sel:WORD_1
	v_pk_add_f16 v15, v15, v10
	v_fma_f16 v10, v6, s3, v0
	v_sub_f16_sdwa v18, v3, v5 dst_sel:DWORD dst_unused:UNUSED_PAD src0_sel:WORD_1 src1_sel:WORD_1
	v_sub_f16_e32 v20, v11, v5
	v_sub_f16_e32 v21, v7, v3
	v_fma_f16 v0, v6, s1, v0
	v_fma_f16 v10, v18, s6, v10
	v_add_f16_e32 v20, v21, v20
	v_fma_f16 v0, v18, s0, v0
	v_fma_f16 v10, v20, s2, v10
	;; [unrolled: 1-line block ×3, first 2 shown]
	v_add_f16_e32 v0, v7, v11
	v_fma_f16 v0, v0, -0.5, v1
	v_fma_f16 v21, v18, s1, v0
	v_sub_f16_e32 v22, v5, v11
	v_sub_f16_e32 v23, v3, v7
	v_fma_f16 v0, v18, s3, v0
	v_add_f16_e32 v22, v23, v22
	v_fma_f16 v0, v6, s0, v0
	v_fma_f16 v21, v6, s6, v21
	;; [unrolled: 1-line block ×3, first 2 shown]
	v_pk_add_f16 v0, v1, v7
	v_pk_add_f16 v0, v0, v3
	;; [unrolled: 1-line block ×4, first 2 shown]
	v_add_f16_sdwa v0, v3, v5 dst_sel:DWORD dst_unused:UNUSED_PAD src0_sel:WORD_1 src1_sel:WORD_1
	v_lshrrev_b32_e32 v1, 16, v1
	v_fma_f16 v21, v22, s2, v21
	v_fma_f16 v0, v0, -0.5, v1
	v_sub_f16_e32 v22, v7, v11
	v_fma_f16 v23, v22, s1, v0
	v_sub_f16_e32 v24, v3, v5
	v_sub_f16_sdwa v25, v7, v3 dst_sel:DWORD dst_unused:UNUSED_PAD src0_sel:WORD_1 src1_sel:WORD_1
	v_sub_f16_sdwa v26, v11, v5 dst_sel:DWORD dst_unused:UNUSED_PAD src0_sel:WORD_1 src1_sel:WORD_1
	v_fma_f16 v0, v22, s3, v0
	v_fma_f16 v23, v24, s0, v23
	v_add_f16_e32 v25, v25, v26
	v_fma_f16 v0, v24, s6, v0
	v_fma_f16 v23, v25, s2, v23
	;; [unrolled: 1-line block ×3, first 2 shown]
	v_add_f16_sdwa v0, v7, v11 dst_sel:DWORD dst_unused:UNUSED_PAD src0_sel:WORD_1 src1_sel:WORD_1
	v_fma_f16 v0, v0, -0.5, v1
	v_fma_f16 v1, v24, s3, v0
	v_sub_f16_sdwa v3, v3, v7 dst_sel:DWORD dst_unused:UNUSED_PAD src0_sel:WORD_1 src1_sel:WORD_1
	v_sub_f16_sdwa v5, v5, v11 dst_sel:DWORD dst_unused:UNUSED_PAD src0_sel:WORD_1 src1_sel:WORD_1
	v_fma_f16 v0, v24, s1, v0
	v_fma_f16 v1, v22, s0, v1
	v_add_f16_e32 v3, v3, v5
	v_fma_f16 v0, v22, s6, v0
	v_fma_f16 v1, v3, s2, v1
	;; [unrolled: 1-line block ×3, first 2 shown]
	v_mul_f16_e32 v0, 0x3a79, v10
	v_fma_f16 v5, v23, s6, v0
	v_mul_f16_e32 v0, 0x3b9c, v1
	v_fma_f16 v11, v21, s2, v0
	v_mul_f16_e32 v0, 0x34f2, v6
	v_fma_f16 v24, v3, s3, -v0
	v_mul_f16_e32 v0, 0x3a79, v20
	v_mul_f16_e32 v10, 0xb8b4, v10
	;; [unrolled: 1-line block ×4, first 2 shown]
	v_fma_f16 v27, v25, s6, -v0
	v_fma_f16 v10, v23, s7, v10
	v_fma_f16 v1, v1, s2, v21
	v_fma_f16 v3, v6, s1, -v3
	v_mul_f16_e32 v25, 0x3a79, v25
	v_add_f16_e32 v7, v14, v5
	v_add_f16_e32 v22, v17, v11
	;; [unrolled: 1-line block ×6, first 2 shown]
	v_fma_f16 v20, v20, s0, -v25
	v_add_f16_e32 v28, v12, v27
	v_pk_add_f16 v0, v15, v18
	v_add_f16_e32 v25, v16, v20
	v_sub_f16_e32 v5, v14, v5
	v_sub_f16_e32 v11, v17, v11
	;; [unrolled: 1-line block ×5, first 2 shown]
	v_pack_b32_f16 v1, v7, v23
	v_pack_b32_f16 v3, v26, v6
	;; [unrolled: 1-line block ×3, first 2 shown]
	s_waitcnt lgkmcnt(0)
	; wave barrier
	ds_write2_b64 v42, v[0:1], v[2:3] offset1:1
	v_pk_add_f16 v1, v15, v18 neg_lo:[0,1] neg_hi:[0,1]
	v_pack_b32_f16 v2, v5, v10
	v_pack_b32_f16 v3, v11, v4
	;; [unrolled: 1-line block ×3, first 2 shown]
	ds_write2_b64 v42, v[0:1], v[2:3] offset0:2 offset1:3
	v_mul_lo_u16_sdwa v2, v38, s16 dst_sel:DWORD dst_unused:UNUSED_PAD src0_sel:BYTE_0 src1_sel:DWORD
	v_lshrrev_b16_e32 v21, 11, v2
	v_mul_lo_u16_e32 v2, 10, v21
	v_sub_u16_e32 v2, v38, v2
	v_and_b32_e32 v22, 0xff, v2
	v_mad_u64_u32 v[10:11], s[16:17], v22, 36, s[14:15]
	v_sub_f16_e32 v13, v13, v24
	v_sub_f16_e32 v12, v12, v27
	;; [unrolled: 1-line block ×3, first 2 shown]
	v_pack_b32_f16 v1, v12, v16
	v_pack_b32_f16 v0, v13, v14
	ds_write_b64 v42, v[0:1] offset:32
	s_waitcnt lgkmcnt(0)
	; wave barrier
	s_waitcnt lgkmcnt(0)
	global_load_dwordx4 v[0:3], v[10:11], off
	global_load_dwordx4 v[4:7], v[10:11], off offset:16
	global_load_dword v44, v[10:11], off offset:32
	ds_read2_b32 v[11:12], v31 offset1:30
	ds_read2_b32 v[13:14], v31 offset0:60 offset1:90
	ds_read2_b32 v[15:16], v31 offset0:120 offset1:150
	ds_read2_b32 v[17:18], v31 offset0:180 offset1:210
	ds_read2_b32 v[19:20], v9 offset0:112 offset1:142
	s_waitcnt lgkmcnt(4)
	v_lshrrev_b32_e32 v24, 16, v12
	s_waitcnt lgkmcnt(3)
	v_lshrrev_b32_e32 v25, 16, v13
	v_lshrrev_b32_e32 v26, 16, v14
	s_waitcnt lgkmcnt(2)
	v_lshrrev_b32_e32 v9, 16, v15
	;; [unrolled: 3-line block ×4, first 2 shown]
	v_lshrrev_b32_e32 v47, 16, v20
	v_lshrrev_b32_e32 v23, 16, v11
	s_waitcnt lgkmcnt(0)
	; wave barrier
	v_mov_b32_e32 v10, s13
	s_waitcnt vmcnt(2)
	v_mul_f16_sdwa v48, v24, v0 dst_sel:DWORD dst_unused:UNUSED_PAD src0_sel:DWORD src1_sel:WORD_1
	v_fma_f16 v48, v12, v0, -v48
	v_mul_f16_sdwa v12, v12, v0 dst_sel:DWORD dst_unused:UNUSED_PAD src0_sel:DWORD src1_sel:WORD_1
	v_fma_f16 v12, v24, v0, v12
	v_mul_f16_sdwa v24, v25, v1 dst_sel:DWORD dst_unused:UNUSED_PAD src0_sel:DWORD src1_sel:WORD_1
	v_fma_f16 v24, v13, v1, -v24
	v_mul_f16_sdwa v13, v13, v1 dst_sel:DWORD dst_unused:UNUSED_PAD src0_sel:DWORD src1_sel:WORD_1
	v_fma_f16 v13, v25, v1, v13
	;; [unrolled: 4-line block ×4, first 2 shown]
	s_waitcnt vmcnt(1)
	v_mul_f16_sdwa v15, v27, v4 dst_sel:DWORD dst_unused:UNUSED_PAD src0_sel:DWORD src1_sel:WORD_1
	v_fma_f16 v15, v16, v4, -v15
	v_mul_f16_sdwa v16, v16, v4 dst_sel:DWORD dst_unused:UNUSED_PAD src0_sel:DWORD src1_sel:WORD_1
	v_fma_f16 v16, v27, v4, v16
	v_mul_f16_sdwa v27, v28, v5 dst_sel:DWORD dst_unused:UNUSED_PAD src0_sel:DWORD src1_sel:WORD_1
	v_fma_f16 v27, v17, v5, -v27
	v_mul_f16_sdwa v17, v17, v5 dst_sel:DWORD dst_unused:UNUSED_PAD src0_sel:DWORD src1_sel:WORD_1
	v_fma_f16 v17, v28, v5, v17
	;; [unrolled: 4-line block ×4, first 2 shown]
	v_add_f16_e32 v49, v26, v27
	v_fma_f16 v49, v49, -0.5, v11
	v_sub_f16_e32 v50, v13, v19
	v_fma_f16 v51, v50, s3, v49
	v_sub_f16_e32 v52, v9, v17
	v_sub_f16_e32 v53, v24, v26
	;; [unrolled: 1-line block ×3, first 2 shown]
	v_fma_f16 v49, v50, s1, v49
	s_waitcnt vmcnt(0)
	v_mul_f16_sdwa v46, v47, v44 dst_sel:DWORD dst_unused:UNUSED_PAD src0_sel:DWORD src1_sel:WORD_1
	v_fma_f16 v51, v52, s6, v51
	v_add_f16_e32 v53, v53, v54
	v_fma_f16 v49, v52, s0, v49
	v_fma_f16 v46, v20, v44, -v46
	v_mul_f16_sdwa v20, v20, v44 dst_sel:DWORD dst_unused:UNUSED_PAD src0_sel:DWORD src1_sel:WORD_1
	v_fma_f16 v51, v53, s2, v51
	v_fma_f16 v49, v53, s2, v49
	v_add_f16_e32 v53, v24, v45
	v_fma_f16 v20, v47, v44, v20
	v_add_f16_e32 v47, v11, v24
	v_fma_f16 v11, v53, -0.5, v11
	v_add_f16_e32 v47, v47, v26
	v_fma_f16 v53, v52, s1, v11
	v_fma_f16 v11, v52, s3, v11
	v_add_f16_e32 v52, v9, v17
	v_add_f16_e32 v47, v47, v27
	v_sub_f16_e32 v54, v26, v24
	v_sub_f16_e32 v55, v27, v45
	v_fma_f16 v52, v52, -0.5, v23
	v_sub_f16_e32 v24, v24, v45
	v_add_f16_e32 v47, v47, v45
	v_fma_f16 v53, v50, s6, v53
	v_add_f16_e32 v54, v54, v55
	v_fma_f16 v11, v50, s0, v11
	v_fma_f16 v45, v24, s1, v52
	v_sub_f16_e32 v26, v26, v27
	v_fma_f16 v53, v54, s2, v53
	v_fma_f16 v11, v54, s2, v11
	;; [unrolled: 1-line block ×3, first 2 shown]
	v_sub_f16_e32 v45, v13, v9
	v_sub_f16_e32 v54, v19, v17
	v_fma_f16 v52, v24, s3, v52
	v_add_f16_e32 v50, v23, v13
	v_add_f16_e32 v45, v45, v54
	v_fma_f16 v52, v26, s6, v52
	v_add_f16_e32 v50, v50, v9
	v_fma_f16 v27, v45, s2, v27
	v_fma_f16 v45, v45, s2, v52
	v_add_f16_e32 v52, v13, v19
	v_add_f16_e32 v50, v50, v17
	v_fma_f16 v23, v52, -0.5, v23
	v_add_f16_e32 v50, v50, v19
	v_fma_f16 v52, v26, s3, v23
	v_sub_f16_e32 v9, v9, v13
	v_sub_f16_e32 v13, v17, v19
	v_add_f16_e32 v19, v15, v28
	v_fma_f16 v52, v24, s0, v52
	v_add_f16_e32 v9, v9, v13
	v_fma_f16 v17, v26, s1, v23
	v_fma_f16 v19, v19, -0.5, v48
	v_sub_f16_e32 v23, v14, v20
	v_fma_f16 v13, v9, s2, v52
	v_fma_f16 v17, v24, s6, v17
	;; [unrolled: 1-line block ×3, first 2 shown]
	v_sub_f16_e32 v26, v16, v18
	v_sub_f16_e32 v52, v25, v15
	v_sub_f16_e32 v54, v46, v28
	v_fma_f16 v19, v23, s1, v19
	v_fma_f16 v24, v26, s6, v24
	v_add_f16_e32 v52, v52, v54
	v_fma_f16 v19, v26, s0, v19
	v_fma_f16 v24, v52, s2, v24
	;; [unrolled: 1-line block ×3, first 2 shown]
	v_add_f16_e32 v52, v25, v46
	v_fma_f16 v9, v9, s2, v17
	v_add_f16_e32 v17, v48, v25
	v_fma_f16 v48, v52, -0.5, v48
	v_add_f16_e32 v17, v17, v15
	v_fma_f16 v52, v26, s1, v48
	v_fma_f16 v26, v26, s3, v48
	v_add_f16_e32 v48, v16, v18
	v_add_f16_e32 v17, v17, v28
	v_sub_f16_e32 v54, v15, v25
	v_sub_f16_e32 v55, v28, v46
	v_fma_f16 v48, v48, -0.5, v12
	v_sub_f16_e32 v25, v25, v46
	v_add_f16_e32 v17, v17, v46
	v_fma_f16 v52, v23, s6, v52
	v_add_f16_e32 v54, v54, v55
	v_fma_f16 v23, v23, s0, v26
	v_fma_f16 v46, v25, s1, v48
	v_sub_f16_e32 v15, v15, v28
	v_fma_f16 v52, v54, s2, v52
	v_fma_f16 v23, v54, s2, v23
	;; [unrolled: 1-line block ×3, first 2 shown]
	v_sub_f16_e32 v46, v14, v16
	v_sub_f16_e32 v54, v20, v18
	v_fma_f16 v48, v25, s3, v48
	v_add_f16_e32 v46, v46, v54
	v_fma_f16 v48, v15, s6, v48
	v_fma_f16 v28, v46, s2, v28
	;; [unrolled: 1-line block ×3, first 2 shown]
	v_add_f16_e32 v48, v14, v20
	v_add_f16_e32 v26, v12, v14
	v_fma_f16 v12, v48, -0.5, v12
	v_add_f16_e32 v26, v26, v16
	v_fma_f16 v48, v15, s3, v12
	v_sub_f16_e32 v14, v16, v14
	v_sub_f16_e32 v16, v18, v20
	v_fma_f16 v12, v15, s1, v12
	v_fma_f16 v48, v25, s0, v48
	v_add_f16_e32 v14, v14, v16
	v_fma_f16 v12, v25, s6, v12
	v_fma_f16 v16, v14, s2, v48
	;; [unrolled: 1-line block ×3, first 2 shown]
	v_mul_f16_e32 v48, 0x34f2, v23
	v_add_f16_e32 v26, v26, v18
	v_mul_f16_e32 v15, 0x38b4, v28
	v_fma_f16 v48, v12, s3, -v48
	v_mul_f16_e32 v12, 0x34f2, v12
	v_add_f16_e32 v26, v26, v20
	v_fma_f16 v15, v24, s7, v15
	v_mul_f16_e32 v20, 0x3b9c, v16
	v_mul_f16_e32 v55, 0x3a79, v19
	;; [unrolled: 1-line block ×3, first 2 shown]
	v_fma_f16 v12, v23, s1, -v12
	v_fma_f16 v20, v52, s2, v20
	v_fma_f16 v55, v46, s6, -v55
	v_fma_f16 v24, v28, s7, v24
	v_mul_f16_e32 v52, 0xbb9c, v52
	v_add_f16_e32 v23, v9, v12
	v_mul_f16_e32 v46, 0x3a79, v46
	v_sub_f16_e32 v9, v9, v12
	v_mul_u32_u24_e32 v12, 0x64, v21
	v_add_f16_e32 v14, v47, v17
	v_add_f16_e32 v18, v51, v15
	;; [unrolled: 1-line block ×4, first 2 shown]
	v_fma_f16 v16, v16, s2, v52
	v_fma_f16 v19, v19, s0, -v46
	v_add_u32_e32 v12, v12, v22
	v_add_f16_e32 v25, v53, v20
	v_add_f16_e32 v54, v11, v48
	;; [unrolled: 1-line block ×4, first 2 shown]
	v_sub_f16_e32 v46, v45, v19
	v_lshl_add_u32 v45, v12, 2, v43
	v_pack_b32_f16 v12, v14, v57
	v_pack_b32_f16 v14, v18, v28
	v_add_f16_e32 v56, v49, v55
	v_sub_f16_e32 v47, v47, v17
	v_sub_f16_e32 v26, v50, v26
	ds_write2_b32 v45, v12, v14 offset1:10
	v_pack_b32_f16 v12, v25, v52
	v_pack_b32_f16 v14, v54, v23
	v_sub_f16_e32 v15, v51, v15
	v_sub_f16_e32 v20, v53, v20
	v_sub_f16_e32 v11, v11, v48
	v_sub_f16_e32 v17, v49, v55
	v_sub_f16_e32 v24, v27, v24
	v_sub_f16_e32 v13, v13, v16
	ds_write2_b32 v45, v12, v14 offset0:20 offset1:30
	v_pack_b32_f16 v12, v56, v58
	v_pack_b32_f16 v14, v47, v26
	ds_write2_b32 v45, v12, v14 offset0:40 offset1:50
	v_pack_b32_f16 v12, v15, v24
	v_pack_b32_f16 v13, v20, v13
	v_pack_b32_f16 v9, v11, v9
	v_pack_b32_f16 v11, v17, v46
	ds_write2_b32 v45, v12, v13 offset0:60 offset1:70
	ds_write2_b32 v45, v9, v11 offset0:80 offset1:90
	s_waitcnt lgkmcnt(0)
	; wave barrier
	s_waitcnt lgkmcnt(0)
	ds_read2_b32 v[23:24], v31 offset1:30
	ds_read2_b32 v[21:22], v31 offset0:60 offset1:100
	ds_read2_b32 v[27:28], v31 offset0:200 offset1:230
	;; [unrolled: 1-line block ×3, first 2 shown]
	ds_read_b32 v50, v31 offset:1040
	v_add_co_u32_e32 v19, vcc, s12, v41
	v_addc_co_u32_e32 v20, vcc, 0, v10, vcc
	v_cmp_gt_u16_e64 s[0:1], 10, v38
                                        ; implicit-def: $vgpr48
                                        ; implicit-def: $vgpr47
                                        ; implicit-def: $vgpr49
	s_and_saveexec_b64 s[2:3], s[0:1]
	s_cbranch_execz .LBB0_3
; %bb.2:
	ds_read2_b32 v[17:18], v31 offset0:90 offset1:190
	ds_read_b32 v47, v31 offset:1160
	s_waitcnt lgkmcnt(1)
	v_lshrrev_b32_e32 v46, 16, v17
	v_lshrrev_b32_e32 v48, 16, v18
	s_waitcnt lgkmcnt(0)
	v_lshrrev_b32_e32 v49, 16, v47
.LBB0_3:
	s_or_b64 exec, exec, s[2:3]
	v_lshlrev_b32_e32 v9, 3, v38
	v_add_u32_e32 v10, 0xf0, v9
	global_load_dwordx2 v[11:12], v9, s[14:15] offset:360
	global_load_dwordx2 v[13:14], v10, s[14:15] offset:360
	v_add_u32_e32 v9, 0x1e0, v9
	global_load_dwordx2 v[15:16], v9, s[14:15] offset:360
	v_add_co_u32_e32 v9, vcc, 0x5a, v38
	v_add_co_u32_e64 v10, s[2:3], -10, v38
	v_addc_co_u32_e64 v52, s[2:3], 0, -1, s[2:3]
	v_cndmask_b32_e64 v9, v10, v9, s[0:1]
	v_addc_co_u32_e64 v10, s[2:3], 0, 0, vcc
	v_cndmask_b32_e64 v10, v52, v10, s[0:1]
	v_lshlrev_b64 v[9:10], 3, v[9:10]
	v_mov_b32_e32 v51, s15
	v_add_co_u32_e32 v9, vcc, s14, v9
	v_addc_co_u32_e32 v10, vcc, v51, v10, vcc
	global_load_dwordx2 v[9:10], v[9:10], off offset:360
	s_waitcnt lgkmcnt(3)
	v_lshrrev_b32_e32 v52, 16, v22
	s_waitcnt lgkmcnt(2)
	v_lshrrev_b32_e32 v53, 16, v27
	;; [unrolled: 2-line block ×3, first 2 shown]
	v_lshrrev_b32_e32 v56, 16, v28
	v_lshrrev_b32_e32 v51, 16, v23
	;; [unrolled: 1-line block ×3, first 2 shown]
	s_waitcnt lgkmcnt(0)
	v_lshrrev_b32_e32 v59, 16, v50
	s_movk_i32 s2, 0x3aee
	s_mov_b32 s3, 0xbaee
	v_lshrrev_b32_e32 v54, 16, v24
	v_lshrrev_b32_e32 v57, 16, v21
	s_waitcnt vmcnt(3)
	v_mul_f16_sdwa v60, v52, v11 dst_sel:DWORD dst_unused:UNUSED_PAD src0_sel:DWORD src1_sel:WORD_1
	v_mul_f16_sdwa v61, v22, v11 dst_sel:DWORD dst_unused:UNUSED_PAD src0_sel:DWORD src1_sel:WORD_1
	;; [unrolled: 1-line block ×4, first 2 shown]
	v_fma_f16 v22, v22, v11, -v60
	v_fma_f16 v52, v52, v11, v61
	v_fma_f16 v27, v27, v12, -v62
	v_fma_f16 v53, v53, v12, v63
	s_waitcnt vmcnt(2)
	v_mul_f16_sdwa v60, v55, v13 dst_sel:DWORD dst_unused:UNUSED_PAD src0_sel:DWORD src1_sel:WORD_1
	v_mul_f16_sdwa v61, v25, v13 dst_sel:DWORD dst_unused:UNUSED_PAD src0_sel:DWORD src1_sel:WORD_1
	;; [unrolled: 1-line block ×4, first 2 shown]
	s_waitcnt vmcnt(1)
	v_mul_f16_sdwa v64, v58, v15 dst_sel:DWORD dst_unused:UNUSED_PAD src0_sel:DWORD src1_sel:WORD_1
	v_fma_f16 v60, v25, v13, -v60
	v_fma_f16 v55, v55, v13, v61
	v_fma_f16 v61, v28, v14, -v62
	v_fma_f16 v56, v56, v14, v63
	v_add_f16_e32 v25, v23, v22
	v_sub_f16_e32 v28, v52, v53
	v_add_f16_e32 v63, v51, v52
	v_add_f16_e32 v52, v52, v53
	v_mul_f16_sdwa v65, v26, v15 dst_sel:DWORD dst_unused:UNUSED_PAD src0_sel:DWORD src1_sel:WORD_1
	v_mul_f16_sdwa v66, v59, v16 dst_sel:DWORD dst_unused:UNUSED_PAD src0_sel:DWORD src1_sel:WORD_1
	;; [unrolled: 1-line block ×3, first 2 shown]
	v_fma_f16 v62, v26, v15, -v64
	v_add_f16_e32 v26, v22, v27
	v_sub_f16_e32 v22, v22, v27
	v_add_f16_e32 v64, v25, v27
	v_fma_f16 v25, v52, -0.5, v51
	v_add_f16_e32 v27, v60, v61
	v_fma_f16 v50, v50, v16, -v66
	v_fma_f16 v59, v59, v16, v67
	v_sub_f16_e32 v51, v55, v56
	v_fma_f16 v66, v22, s3, v25
	v_fma_f16 v67, v22, s2, v25
	v_fma_f16 v22, v27, -0.5, v24
	v_fma_f16 v23, v26, -0.5, v23
	v_fma_f16 v69, v51, s2, v22
	v_fma_f16 v51, v51, s3, v22
	s_waitcnt vmcnt(0)
	v_mul_f16_sdwa v22, v48, v9 dst_sel:DWORD dst_unused:UNUSED_PAD src0_sel:DWORD src1_sel:WORD_1
	v_fma_f16 v58, v58, v15, v65
	v_add_f16_e32 v53, v63, v53
	v_fma_f16 v63, v28, s2, v23
	v_fma_f16 v65, v28, s3, v23
	v_mul_f16_sdwa v23, v18, v9 dst_sel:DWORD dst_unused:UNUSED_PAD src0_sel:DWORD src1_sel:WORD_1
	v_fma_f16 v25, v18, v9, -v22
	v_add_f16_e32 v18, v55, v56
	v_add_f16_e32 v26, v24, v60
	v_mul_f16_sdwa v24, v49, v10 dst_sel:DWORD dst_unused:UNUSED_PAD src0_sel:DWORD src1_sel:WORD_1
	v_fma_f16 v18, v18, -0.5, v54
	v_sub_f16_e32 v22, v60, v61
	v_add_f16_e32 v68, v26, v61
	v_mul_f16_sdwa v28, v47, v10 dst_sel:DWORD dst_unused:UNUSED_PAD src0_sel:DWORD src1_sel:WORD_1
	v_fma_f16 v27, v48, v9, v23
	v_fma_f16 v26, v47, v10, -v24
	v_fma_f16 v47, v22, s3, v18
	v_fma_f16 v48, v22, s2, v18
	v_add_f16_e32 v18, v21, v62
	v_fma_f16 v28, v49, v10, v28
	v_add_f16_e32 v49, v18, v50
	v_add_f16_e32 v18, v62, v50
	v_fma_f16 v18, v18, -0.5, v21
	v_sub_f16_e32 v21, v58, v59
	v_add_f16_e32 v52, v54, v55
	v_fma_f16 v54, v21, s2, v18
	v_fma_f16 v55, v21, s3, v18
	v_add_f16_e32 v18, v57, v58
	v_add_f16_e32 v52, v52, v56
	;; [unrolled: 1-line block ×4, first 2 shown]
	v_fma_f16 v18, v18, -0.5, v57
	v_sub_f16_e32 v21, v62, v50
	v_fma_f16 v50, v21, s3, v18
	v_fma_f16 v57, v21, s2, v18
	v_add_f16_e32 v18, v25, v26
	v_fma_f16 v21, v18, -0.5, v17
	v_sub_f16_e32 v22, v27, v28
	v_fma_f16 v18, v22, s2, v21
	v_fma_f16 v22, v22, s3, v21
	v_add_f16_e32 v21, v27, v28
	v_fma_f16 v21, v21, -0.5, v46
	v_sub_f16_e32 v24, v25, v26
	v_fma_f16 v23, v24, s3, v21
	v_fma_f16 v24, v24, s2, v21
	v_lshl_add_u32 v21, v38, 2, v43
	v_pack_b32_f16 v43, v63, v66
	ds_write_b32 v21, v43 offset:400
	v_pack_b32_f16 v43, v65, v67
	v_pack_b32_f16 v53, v64, v53
	ds_write_b32 v21, v43 offset:800
	v_pack_b32_f16 v43, v68, v52
	ds_write2_b32 v31, v53, v43 offset1:30
	v_pack_b32_f16 v43, v69, v47
	ds_write_b32 v21, v43 offset:520
	v_pack_b32_f16 v43, v51, v48
	ds_write_b32 v21, v43 offset:920
	v_pack_b32_f16 v43, v49, v56
	v_pack_b32_f16 v47, v54, v50
	ds_write2_b32 v31, v43, v47 offset0:60 offset1:160
	v_pack_b32_f16 v43, v55, v57
	ds_write_b32 v31, v43 offset:1040
	s_and_saveexec_b64 s[2:3], s[0:1]
	s_cbranch_execz .LBB0_5
; %bb.4:
	v_add_f16_e32 v27, v46, v27
	v_add_f16_e32 v17, v17, v25
	;; [unrolled: 1-line block ×4, first 2 shown]
	v_pack_b32_f16 v17, v17, v27
	s_mov_b32 s6, 0x5040100
	ds_write_b32 v31, v17 offset:360
	v_perm_b32 v17, v23, v18, s6
	v_perm_b32 v25, v24, v22, s6
	v_add_u32_e32 v26, 0x200, v21
	ds_write2_b32 v26, v17, v25 offset0:62 offset1:162
.LBB0_5:
	s_or_b64 exec, exec, s[2:3]
	s_waitcnt lgkmcnt(0)
	; wave barrier
	s_waitcnt lgkmcnt(0)
	global_load_dword v19, v[19:20], off offset:1200
	ds_read2_b32 v[26:27], v31 offset1:30
	s_add_u32 s2, s12, 0x4b0
	s_addc_u32 s3, s13, 0
	s_mov_b32 s12, 0xbb9c
	s_mov_b32 s7, 0xb8b4
	s_waitcnt lgkmcnt(0)
	v_lshrrev_b32_e32 v17, 16, v26
	s_movk_i32 s6, 0x34f2
	s_movk_i32 s13, 0x3a79
	s_mov_b32 s14, 0xb4f2
	s_mov_b32 s15, 0xba79
	v_add_u32_e32 v25, 0xf0, v31
	s_waitcnt vmcnt(0)
	v_mul_f16_sdwa v20, v17, v19 dst_sel:DWORD dst_unused:UNUSED_PAD src0_sel:DWORD src1_sel:WORD_1
	v_fma_f16 v20, v26, v19, -v20
	v_mul_f16_sdwa v26, v26, v19 dst_sel:DWORD dst_unused:UNUSED_PAD src0_sel:DWORD src1_sel:WORD_1
	v_fma_f16 v17, v17, v19, v26
	v_pack_b32_f16 v17, v20, v17
	global_load_dword v20, v41, s[2:3] offset:120
	v_lshrrev_b32_e32 v19, 16, v27
	s_waitcnt vmcnt(0)
	v_mul_f16_sdwa v26, v19, v20 dst_sel:DWORD dst_unused:UNUSED_PAD src0_sel:DWORD src1_sel:WORD_1
	v_fma_f16 v26, v27, v20, -v26
	v_mul_f16_sdwa v27, v27, v20 dst_sel:DWORD dst_unused:UNUSED_PAD src0_sel:DWORD src1_sel:WORD_1
	v_fma_f16 v19, v19, v20, v27
	v_pack_b32_f16 v19, v26, v19
	global_load_dword v26, v41, s[2:3] offset:240
	ds_write2_b32 v31, v17, v19 offset1:30
	ds_read2_b32 v[19:20], v31 offset0:60 offset1:90
	s_waitcnt lgkmcnt(0)
	v_lshrrev_b32_e32 v17, 16, v19
	s_waitcnt vmcnt(0)
	v_mul_f16_sdwa v27, v17, v26 dst_sel:DWORD dst_unused:UNUSED_PAD src0_sel:DWORD src1_sel:WORD_1
	v_fma_f16 v27, v19, v26, -v27
	v_mul_f16_sdwa v19, v19, v26 dst_sel:DWORD dst_unused:UNUSED_PAD src0_sel:DWORD src1_sel:WORD_1
	v_fma_f16 v17, v17, v26, v19
	global_load_dword v26, v41, s[2:3] offset:360
	v_lshrrev_b32_e32 v19, 16, v20
	v_pack_b32_f16 v17, v27, v17
	s_waitcnt vmcnt(0)
	v_mul_f16_sdwa v27, v19, v26 dst_sel:DWORD dst_unused:UNUSED_PAD src0_sel:DWORD src1_sel:WORD_1
	v_fma_f16 v27, v20, v26, -v27
	v_mul_f16_sdwa v20, v20, v26 dst_sel:DWORD dst_unused:UNUSED_PAD src0_sel:DWORD src1_sel:WORD_1
	v_fma_f16 v19, v19, v26, v20
	global_load_dword v26, v41, s[2:3] offset:480
	v_pack_b32_f16 v19, v27, v19
	ds_write2_b32 v31, v17, v19 offset0:60 offset1:90
	ds_read2_b32 v[19:20], v31 offset0:120 offset1:150
	s_waitcnt lgkmcnt(0)
	v_lshrrev_b32_e32 v17, 16, v19
	s_waitcnt vmcnt(0)
	v_mul_f16_sdwa v27, v17, v26 dst_sel:DWORD dst_unused:UNUSED_PAD src0_sel:DWORD src1_sel:WORD_1
	v_fma_f16 v27, v19, v26, -v27
	v_mul_f16_sdwa v19, v19, v26 dst_sel:DWORD dst_unused:UNUSED_PAD src0_sel:DWORD src1_sel:WORD_1
	v_fma_f16 v17, v17, v26, v19
	global_load_dword v26, v41, s[2:3] offset:600
	v_lshrrev_b32_e32 v19, 16, v20
	v_pack_b32_f16 v17, v27, v17
	s_waitcnt vmcnt(0)
	v_mul_f16_sdwa v27, v19, v26 dst_sel:DWORD dst_unused:UNUSED_PAD src0_sel:DWORD src1_sel:WORD_1
	v_fma_f16 v27, v20, v26, -v27
	v_mul_f16_sdwa v20, v20, v26 dst_sel:DWORD dst_unused:UNUSED_PAD src0_sel:DWORD src1_sel:WORD_1
	v_fma_f16 v19, v19, v26, v20
	global_load_dword v26, v41, s[2:3] offset:720
	v_pack_b32_f16 v19, v27, v19
	ds_write2_b32 v31, v17, v19 offset0:120 offset1:150
	ds_read2_b32 v[19:20], v31 offset0:180 offset1:210
	s_waitcnt lgkmcnt(0)
	v_lshrrev_b32_e32 v17, 16, v19
	s_waitcnt vmcnt(0)
	v_mul_f16_sdwa v27, v17, v26 dst_sel:DWORD dst_unused:UNUSED_PAD src0_sel:DWORD src1_sel:WORD_1
	v_fma_f16 v27, v19, v26, -v27
	v_mul_f16_sdwa v19, v19, v26 dst_sel:DWORD dst_unused:UNUSED_PAD src0_sel:DWORD src1_sel:WORD_1
	v_fma_f16 v17, v17, v26, v19
	global_load_dword v26, v41, s[2:3] offset:840
	v_lshrrev_b32_e32 v19, 16, v20
	v_pack_b32_f16 v17, v27, v17
	s_waitcnt vmcnt(0)
	v_mul_f16_sdwa v27, v19, v26 dst_sel:DWORD dst_unused:UNUSED_PAD src0_sel:DWORD src1_sel:WORD_1
	v_fma_f16 v27, v20, v26, -v27
	v_mul_f16_sdwa v20, v20, v26 dst_sel:DWORD dst_unused:UNUSED_PAD src0_sel:DWORD src1_sel:WORD_1
	v_fma_f16 v19, v19, v26, v20
	v_pack_b32_f16 v19, v27, v19
	global_load_dword v27, v41, s[2:3] offset:960
	ds_write2_b32 v31, v17, v19 offset0:180 offset1:210
	v_add_u32_e32 v17, 0x200, v31
	ds_read2_b32 v[19:20], v17 offset0:112 offset1:142
	s_waitcnt lgkmcnt(0)
	v_lshrrev_b32_e32 v26, 16, v19
	s_waitcnt vmcnt(0)
	v_mul_f16_sdwa v28, v26, v27 dst_sel:DWORD dst_unused:UNUSED_PAD src0_sel:DWORD src1_sel:WORD_1
	v_fma_f16 v28, v19, v27, -v28
	v_mul_f16_sdwa v19, v19, v27 dst_sel:DWORD dst_unused:UNUSED_PAD src0_sel:DWORD src1_sel:WORD_1
	v_fma_f16 v19, v26, v27, v19
	global_load_dword v27, v41, s[2:3] offset:1080
	v_lshrrev_b32_e32 v26, 16, v20
	v_pack_b32_f16 v19, v28, v19
	s_movk_i32 s3, 0x3b9c
	s_movk_i32 s2, 0x38b4
	s_waitcnt vmcnt(0)
	v_mul_f16_sdwa v28, v26, v27 dst_sel:DWORD dst_unused:UNUSED_PAD src0_sel:DWORD src1_sel:WORD_1
	v_fma_f16 v28, v20, v27, -v28
	v_mul_f16_sdwa v20, v20, v27 dst_sel:DWORD dst_unused:UNUSED_PAD src0_sel:DWORD src1_sel:WORD_1
	v_fma_f16 v20, v26, v27, v20
	v_pack_b32_f16 v20, v28, v20
	ds_write2_b32 v17, v19, v20 offset0:112 offset1:142
	s_waitcnt lgkmcnt(0)
	; wave barrier
	s_waitcnt lgkmcnt(0)
	ds_read2_b32 v[19:20], v31 offset1:30
	ds_read2_b32 v[26:27], v31 offset0:60 offset1:90
	ds_read2_b32 v[46:47], v31 offset0:120 offset1:150
	;; [unrolled: 1-line block ×4, first 2 shown]
	s_waitcnt lgkmcnt(0)
	; wave barrier
	s_waitcnt lgkmcnt(0)
	v_sub_f16_e32 v54, v26, v46
	v_add_f16_e32 v28, v46, v48
	v_fma_f16 v28, v28, -0.5, v19
	v_sub_f16_sdwa v41, v26, v50 dst_sel:DWORD dst_unused:UNUSED_PAD src0_sel:WORD_1 src1_sel:WORD_1
	v_fma_f16 v43, v41, s12, v28
	v_sub_f16_sdwa v52, v46, v48 dst_sel:DWORD dst_unused:UNUSED_PAD src0_sel:WORD_1 src1_sel:WORD_1
	v_sub_f16_e32 v53, v50, v48
	v_fma_f16 v28, v41, s3, v28
	v_fma_f16 v43, v52, s7, v43
	v_add_f16_e32 v53, v54, v53
	v_fma_f16 v28, v52, s2, v28
	v_fma_f16 v43, v53, s6, v43
	;; [unrolled: 1-line block ×3, first 2 shown]
	v_add_f16_e32 v53, v26, v50
	v_fma_f16 v53, v53, -0.5, v19
	v_fma_f16 v54, v52, s3, v53
	v_sub_f16_e32 v55, v48, v50
	v_sub_f16_e32 v56, v46, v26
	v_fma_f16 v52, v52, s12, v53
	v_fma_f16 v54, v41, s7, v54
	v_add_f16_e32 v55, v56, v55
	v_fma_f16 v41, v41, s2, v52
	v_pk_add_f16 v52, v19, v26
	v_add_f16_sdwa v53, v46, v48 dst_sel:DWORD dst_unused:UNUSED_PAD src0_sel:WORD_1 src1_sel:WORD_1
	v_lshrrev_b32_e32 v19, 16, v19
	v_fma_f16 v54, v55, s6, v54
	v_fma_f16 v41, v55, s6, v41
	v_fma_f16 v53, v53, -0.5, v19
	v_sub_f16_e32 v55, v26, v50
	v_fma_f16 v56, v55, s3, v53
	v_sub_f16_e32 v57, v46, v48
	v_sub_f16_sdwa v58, v26, v46 dst_sel:DWORD dst_unused:UNUSED_PAD src0_sel:WORD_1 src1_sel:WORD_1
	v_sub_f16_sdwa v59, v50, v48 dst_sel:DWORD dst_unused:UNUSED_PAD src0_sel:WORD_1 src1_sel:WORD_1
	v_fma_f16 v53, v55, s12, v53
	v_fma_f16 v56, v57, s2, v56
	v_add_f16_e32 v58, v58, v59
	v_fma_f16 v53, v57, s7, v53
	v_fma_f16 v56, v58, s6, v56
	v_fma_f16 v53, v58, s6, v53
	v_add_f16_sdwa v58, v26, v50 dst_sel:DWORD dst_unused:UNUSED_PAD src0_sel:WORD_1 src1_sel:WORD_1
	v_fma_f16 v19, v58, -0.5, v19
	v_pk_add_f16 v52, v52, v46
	v_fma_f16 v58, v57, s12, v19
	v_sub_f16_sdwa v26, v46, v26 dst_sel:DWORD dst_unused:UNUSED_PAD src0_sel:WORD_1 src1_sel:WORD_1
	v_sub_f16_sdwa v46, v48, v50 dst_sel:DWORD dst_unused:UNUSED_PAD src0_sel:WORD_1 src1_sel:WORD_1
	v_fma_f16 v19, v57, s3, v19
	v_fma_f16 v58, v55, s2, v58
	v_add_f16_e32 v26, v26, v46
	v_fma_f16 v19, v55, s7, v19
	v_fma_f16 v46, v26, s6, v58
	;; [unrolled: 1-line block ×3, first 2 shown]
	v_add_f16_e32 v19, v47, v49
	v_pk_add_f16 v52, v52, v48
	v_fma_f16 v19, v19, -0.5, v20
	v_sub_f16_sdwa v48, v27, v51 dst_sel:DWORD dst_unused:UNUSED_PAD src0_sel:WORD_1 src1_sel:WORD_1
	v_pk_add_f16 v52, v52, v50
	v_fma_f16 v50, v48, s12, v19
	v_sub_f16_sdwa v55, v47, v49 dst_sel:DWORD dst_unused:UNUSED_PAD src0_sel:WORD_1 src1_sel:WORD_1
	v_sub_f16_e32 v57, v51, v49
	v_sub_f16_e32 v58, v27, v47
	v_fma_f16 v19, v48, s3, v19
	v_fma_f16 v50, v55, s7, v50
	v_add_f16_e32 v57, v58, v57
	v_fma_f16 v19, v55, s2, v19
	v_fma_f16 v50, v57, s6, v50
	;; [unrolled: 1-line block ×3, first 2 shown]
	v_add_f16_e32 v19, v27, v51
	v_fma_f16 v19, v19, -0.5, v20
	v_fma_f16 v58, v55, s3, v19
	v_sub_f16_e32 v59, v49, v51
	v_sub_f16_e32 v60, v47, v27
	v_fma_f16 v19, v55, s12, v19
	v_add_f16_e32 v59, v60, v59
	v_fma_f16 v19, v48, s2, v19
	v_fma_f16 v58, v48, s7, v58
	v_fma_f16 v48, v59, s6, v19
	v_pk_add_f16 v19, v20, v27
	v_pk_add_f16 v19, v19, v47
	;; [unrolled: 1-line block ×4, first 2 shown]
	v_add_f16_sdwa v19, v47, v49 dst_sel:DWORD dst_unused:UNUSED_PAD src0_sel:WORD_1 src1_sel:WORD_1
	v_lshrrev_b32_e32 v20, 16, v20
	v_fma_f16 v58, v59, s6, v58
	v_fma_f16 v19, v19, -0.5, v20
	v_sub_f16_e32 v59, v27, v51
	v_fma_f16 v60, v59, s3, v19
	v_sub_f16_e32 v61, v47, v49
	v_sub_f16_sdwa v62, v27, v47 dst_sel:DWORD dst_unused:UNUSED_PAD src0_sel:WORD_1 src1_sel:WORD_1
	v_sub_f16_sdwa v63, v51, v49 dst_sel:DWORD dst_unused:UNUSED_PAD src0_sel:WORD_1 src1_sel:WORD_1
	v_fma_f16 v19, v59, s12, v19
	v_fma_f16 v60, v61, s2, v60
	v_add_f16_e32 v62, v62, v63
	v_fma_f16 v19, v61, s7, v19
	v_fma_f16 v60, v62, s6, v60
	;; [unrolled: 1-line block ×3, first 2 shown]
	v_add_f16_sdwa v19, v27, v51 dst_sel:DWORD dst_unused:UNUSED_PAD src0_sel:WORD_1 src1_sel:WORD_1
	v_fma_f16 v19, v19, -0.5, v20
	v_fma_f16 v20, v61, s12, v19
	v_sub_f16_sdwa v27, v47, v27 dst_sel:DWORD dst_unused:UNUSED_PAD src0_sel:WORD_1 src1_sel:WORD_1
	v_sub_f16_sdwa v47, v49, v51 dst_sel:DWORD dst_unused:UNUSED_PAD src0_sel:WORD_1 src1_sel:WORD_1
	v_fma_f16 v19, v61, s3, v19
	v_fma_f16 v20, v59, s2, v20
	v_add_f16_e32 v27, v27, v47
	v_fma_f16 v19, v59, s7, v19
	v_fma_f16 v20, v27, s6, v20
	;; [unrolled: 1-line block ×3, first 2 shown]
	v_mul_f16_e32 v19, 0xb8b4, v60
	v_fma_f16 v47, v50, s13, v19
	v_mul_f16_e32 v19, 0xbb9c, v20
	v_fma_f16 v51, v58, s6, v19
	v_mul_f16_e32 v19, 0xbb9c, v27
	v_mul_f16_e32 v50, 0x38b4, v50
	;; [unrolled: 1-line block ×4, first 2 shown]
	v_fma_f16 v61, v48, s14, v19
	v_mul_f16_e32 v19, 0xb8b4, v62
	v_fma_f16 v50, v60, s13, v50
	v_fma_f16 v20, v58, s3, v20
	;; [unrolled: 1-line block ×3, first 2 shown]
	v_mul_f16_e32 v62, 0xba79, v62
	v_add_f16_e32 v49, v43, v47
	v_add_f16_e32 v59, v54, v51
	v_add_f16_e32 v63, v41, v61
	v_fma_f16 v64, v57, s15, v19
	v_add_f16_e32 v60, v56, v50
	v_add_f16_e32 v58, v46, v20
	v_add_f16_e32 v48, v26, v27
	v_fma_f16 v57, v57, s2, v62
	v_add_f16_e32 v65, v28, v64
	v_pk_add_f16 v19, v52, v55
	v_add_f16_e32 v62, v53, v57
	v_sub_f16_e32 v43, v43, v47
	v_sub_f16_e32 v47, v54, v51
	;; [unrolled: 1-line block ×5, first 2 shown]
	v_pack_b32_f16 v27, v63, v48
	v_pack_b32_f16 v26, v59, v58
	v_pack_b32_f16 v20, v49, v60
	v_sub_f16_e32 v41, v41, v61
	v_sub_f16_e32 v28, v28, v64
	;; [unrolled: 1-line block ×3, first 2 shown]
	ds_write2_b64 v42, v[19:20], v[26:27] offset1:1
	v_pk_add_f16 v20, v52, v55 neg_lo:[0,1] neg_hi:[0,1]
	v_pack_b32_f16 v27, v47, v46
	v_pack_b32_f16 v26, v43, v50
	;; [unrolled: 1-line block ×3, first 2 shown]
	ds_write2_b64 v42, v[19:20], v[26:27] offset0:2 offset1:3
	v_pack_b32_f16 v20, v28, v53
	v_pack_b32_f16 v19, v41, v51
	ds_write_b64 v42, v[19:20] offset:32
	s_waitcnt lgkmcnt(0)
	; wave barrier
	s_waitcnt lgkmcnt(0)
	ds_read2_b32 v[19:20], v31 offset1:30
	ds_read2_b32 v[26:27], v31 offset0:60 offset1:90
	ds_read2_b32 v[41:42], v31 offset0:120 offset1:150
	ds_read2_b32 v[46:47], v31 offset0:180 offset1:210
	ds_read2_b32 v[48:49], v17 offset0:112 offset1:142
	s_waitcnt lgkmcnt(4)
	v_lshrrev_b32_e32 v43, 16, v20
	v_mul_f16_sdwa v57, v0, v43 dst_sel:DWORD dst_unused:UNUSED_PAD src0_sel:WORD_1 src1_sel:DWORD
	s_waitcnt lgkmcnt(3)
	v_lshrrev_b32_e32 v50, 16, v26
	v_fma_f16 v57, v0, v20, v57
	v_mul_f16_sdwa v20, v0, v20 dst_sel:DWORD dst_unused:UNUSED_PAD src0_sel:WORD_1 src1_sel:DWORD
	v_fma_f16 v0, v0, v43, -v20
	v_mul_f16_sdwa v20, v1, v50 dst_sel:DWORD dst_unused:UNUSED_PAD src0_sel:WORD_1 src1_sel:DWORD
	v_lshrrev_b32_e32 v51, 16, v27
	v_fma_f16 v20, v1, v26, v20
	v_mul_f16_sdwa v26, v1, v26 dst_sel:DWORD dst_unused:UNUSED_PAD src0_sel:WORD_1 src1_sel:DWORD
	v_fma_f16 v1, v1, v50, -v26
	v_mul_f16_sdwa v26, v2, v51 dst_sel:DWORD dst_unused:UNUSED_PAD src0_sel:WORD_1 src1_sel:DWORD
	s_waitcnt lgkmcnt(2)
	v_lshrrev_b32_e32 v52, 16, v41
	v_fma_f16 v26, v2, v27, v26
	v_mul_f16_sdwa v27, v2, v27 dst_sel:DWORD dst_unused:UNUSED_PAD src0_sel:WORD_1 src1_sel:DWORD
	v_fma_f16 v2, v2, v51, -v27
	v_mul_f16_sdwa v27, v3, v52 dst_sel:DWORD dst_unused:UNUSED_PAD src0_sel:WORD_1 src1_sel:DWORD
	v_lshrrev_b32_e32 v53, 16, v42
	v_fma_f16 v27, v3, v41, v27
	v_mul_f16_sdwa v41, v3, v41 dst_sel:DWORD dst_unused:UNUSED_PAD src0_sel:WORD_1 src1_sel:DWORD
	v_fma_f16 v3, v3, v52, -v41
	v_mul_f16_sdwa v41, v4, v53 dst_sel:DWORD dst_unused:UNUSED_PAD src0_sel:WORD_1 src1_sel:DWORD
	s_waitcnt lgkmcnt(1)
	v_lshrrev_b32_e32 v54, 16, v46
	v_fma_f16 v41, v4, v42, v41
	v_mul_f16_sdwa v42, v4, v42 dst_sel:DWORD dst_unused:UNUSED_PAD src0_sel:WORD_1 src1_sel:DWORD
	v_lshrrev_b32_e32 v55, 16, v47
	v_fma_f16 v4, v4, v53, -v42
	v_mul_f16_sdwa v42, v5, v54 dst_sel:DWORD dst_unused:UNUSED_PAD src0_sel:WORD_1 src1_sel:DWORD
	v_mul_f16_sdwa v43, v5, v46 dst_sel:DWORD dst_unused:UNUSED_PAD src0_sel:WORD_1 src1_sel:DWORD
	s_waitcnt lgkmcnt(0)
	v_lshrrev_b32_e32 v17, 16, v48
	v_fma_f16 v42, v5, v46, v42
	v_fma_f16 v5, v5, v54, -v43
	v_mul_f16_sdwa v43, v6, v55 dst_sel:DWORD dst_unused:UNUSED_PAD src0_sel:WORD_1 src1_sel:DWORD
	v_mul_f16_sdwa v46, v6, v47 dst_sel:DWORD dst_unused:UNUSED_PAD src0_sel:WORD_1 src1_sel:DWORD
	v_lshrrev_b32_e32 v56, 16, v49
	v_fma_f16 v43, v6, v47, v43
	v_fma_f16 v6, v6, v55, -v46
	v_mul_f16_sdwa v46, v7, v17 dst_sel:DWORD dst_unused:UNUSED_PAD src0_sel:WORD_1 src1_sel:DWORD
	v_mul_f16_sdwa v47, v7, v48 dst_sel:DWORD dst_unused:UNUSED_PAD src0_sel:WORD_1 src1_sel:DWORD
	v_fma_f16 v46, v7, v48, v46
	v_fma_f16 v7, v7, v17, -v47
	v_mul_f16_sdwa v17, v44, v56 dst_sel:DWORD dst_unused:UNUSED_PAD src0_sel:WORD_1 src1_sel:DWORD
	v_add_f16_e32 v48, v27, v42
	v_fma_f16 v17, v44, v49, v17
	v_mul_f16_sdwa v47, v44, v49 dst_sel:DWORD dst_unused:UNUSED_PAD src0_sel:WORD_1 src1_sel:DWORD
	v_fma_f16 v48, v48, -0.5, v19
	v_sub_f16_e32 v49, v1, v7
	v_fma_f16 v50, v49, s12, v48
	v_sub_f16_e32 v51, v3, v5
	v_sub_f16_e32 v52, v20, v27
	;; [unrolled: 1-line block ×3, first 2 shown]
	v_fma_f16 v48, v49, s3, v48
	v_fma_f16 v50, v51, s7, v50
	v_add_f16_e32 v52, v52, v53
	v_fma_f16 v48, v51, s2, v48
	v_fma_f16 v50, v52, s6, v50
	;; [unrolled: 1-line block ×3, first 2 shown]
	v_add_f16_e32 v52, v20, v46
	v_lshrrev_b32_e32 v28, 16, v19
	v_fma_f16 v44, v44, v56, -v47
	v_add_f16_e32 v47, v19, v20
	v_fma_f16 v19, v52, -0.5, v19
	v_add_f16_e32 v47, v47, v27
	v_fma_f16 v52, v51, s3, v19
	v_fma_f16 v19, v51, s12, v19
	v_add_f16_e32 v51, v3, v5
	v_add_f16_e32 v47, v47, v42
	v_sub_f16_e32 v53, v27, v20
	v_sub_f16_e32 v54, v42, v46
	v_fma_f16 v51, v51, -0.5, v28
	v_sub_f16_e32 v20, v20, v46
	v_add_f16_e32 v47, v47, v46
	v_fma_f16 v52, v49, s7, v52
	v_add_f16_e32 v53, v53, v54
	v_fma_f16 v19, v49, s2, v19
	v_fma_f16 v46, v20, s3, v51
	v_sub_f16_e32 v27, v27, v42
	v_fma_f16 v52, v53, s6, v52
	v_fma_f16 v19, v53, s6, v19
	;; [unrolled: 1-line block ×3, first 2 shown]
	v_sub_f16_e32 v46, v1, v3
	v_sub_f16_e32 v53, v7, v5
	v_fma_f16 v51, v20, s12, v51
	v_add_f16_e32 v49, v28, v1
	v_add_f16_e32 v46, v46, v53
	v_fma_f16 v51, v27, s7, v51
	v_add_f16_e32 v49, v49, v3
	v_fma_f16 v42, v46, s6, v42
	v_fma_f16 v46, v46, s6, v51
	v_add_f16_e32 v51, v1, v7
	v_add_f16_e32 v49, v49, v5
	v_fma_f16 v28, v51, -0.5, v28
	v_add_f16_e32 v49, v49, v7
	v_fma_f16 v51, v27, s12, v28
	v_sub_f16_e32 v1, v3, v1
	v_sub_f16_e32 v3, v5, v7
	v_fma_f16 v5, v27, s3, v28
	v_add_f16_e32 v7, v41, v43
	v_fma_f16 v51, v20, s2, v51
	v_add_f16_e32 v1, v1, v3
	v_fma_f16 v5, v20, s7, v5
	v_fma_f16 v7, v7, -0.5, v57
	v_sub_f16_e32 v20, v2, v44
	v_fma_f16 v3, v1, s6, v51
	v_fma_f16 v27, v20, s12, v7
	v_sub_f16_e32 v28, v4, v6
	v_sub_f16_e32 v51, v26, v41
	;; [unrolled: 1-line block ×3, first 2 shown]
	v_fma_f16 v7, v20, s3, v7
	v_fma_f16 v27, v28, s7, v27
	v_add_f16_e32 v51, v51, v53
	v_fma_f16 v7, v28, s2, v7
	v_fma_f16 v1, v1, s6, v5
	v_add_f16_e32 v5, v57, v26
	;; [unrolled: 3-line block ×3, first 2 shown]
	v_add_f16_e32 v5, v5, v41
	v_fma_f16 v51, v51, -0.5, v57
	v_add_f16_e32 v5, v5, v43
	v_fma_f16 v53, v28, s3, v51
	v_sub_f16_e32 v54, v41, v26
	v_sub_f16_e32 v55, v43, v17
	v_fma_f16 v28, v28, s12, v51
	v_add_f16_e32 v51, v4, v6
	v_add_f16_e32 v5, v5, v17
	v_fma_f16 v53, v20, s7, v53
	v_add_f16_e32 v54, v54, v55
	v_fma_f16 v20, v20, s2, v28
	v_fma_f16 v51, v51, -0.5, v0
	v_sub_f16_e32 v17, v26, v17
	v_fma_f16 v53, v54, s6, v53
	v_fma_f16 v20, v54, s6, v20
	;; [unrolled: 1-line block ×3, first 2 shown]
	v_sub_f16_e32 v41, v41, v43
	v_sub_f16_e32 v43, v2, v4
	;; [unrolled: 1-line block ×3, first 2 shown]
	v_fma_f16 v51, v17, s12, v51
	v_fma_f16 v26, v41, s2, v26
	v_add_f16_e32 v43, v43, v54
	v_fma_f16 v51, v41, s7, v51
	v_fma_f16 v26, v43, s6, v26
	;; [unrolled: 1-line block ×3, first 2 shown]
	v_add_f16_e32 v51, v2, v44
	v_add_f16_e32 v28, v0, v2
	v_fma_f16 v0, v51, -0.5, v0
	v_add_f16_e32 v28, v28, v4
	v_fma_f16 v51, v41, s12, v0
	v_sub_f16_e32 v2, v4, v2
	v_sub_f16_e32 v4, v6, v44
	v_fma_f16 v0, v41, s3, v0
	v_fma_f16 v51, v17, s2, v51
	v_add_f16_e32 v2, v2, v4
	v_fma_f16 v0, v17, s7, v0
	v_add_f16_e32 v28, v28, v6
	v_fma_f16 v4, v2, s6, v51
	v_fma_f16 v0, v2, s6, v0
	v_mul_f16_e32 v6, 0xb8b4, v26
	v_mul_f16_e32 v26, 0x3a79, v26
	v_add_f16_e32 v28, v28, v44
	v_fma_f16 v6, v27, s13, v6
	v_mul_f16_e32 v17, 0xbb9c, v4
	v_mul_f16_e32 v51, 0xbb9c, v0
	v_fma_f16 v26, v27, s2, v26
	v_mul_f16_e32 v4, 0x34f2, v4
	v_mul_f16_e32 v0, 0xb4f2, v0
	v_add_f16_e32 v2, v47, v5
	v_add_f16_e32 v41, v50, v6
	v_fma_f16 v17, v53, s6, v17
	v_fma_f16 v51, v20, s14, v51
	v_mul_f16_e32 v55, 0xb8b4, v43
	v_add_f16_e32 v57, v49, v28
	v_add_f16_e32 v27, v42, v26
	v_fma_f16 v4, v53, s3, v4
	v_fma_f16 v0, v20, s3, v0
	v_mul_f16_e32 v43, 0xba79, v43
	v_add_f16_e32 v44, v52, v17
	v_add_f16_e32 v54, v19, v51
	v_fma_f16 v55, v7, s15, v55
	v_add_f16_e32 v53, v3, v4
	v_add_f16_e32 v20, v1, v0
	v_fma_f16 v7, v7, s2, v43
	v_sub_f16_e32 v0, v1, v0
	v_pack_b32_f16 v1, v2, v57
	v_pack_b32_f16 v2, v41, v27
	v_add_f16_e32 v56, v48, v55
	v_add_f16_e32 v43, v46, v7
	v_sub_f16_e32 v5, v47, v5
	v_sub_f16_e32 v28, v49, v28
	s_waitcnt lgkmcnt(0)
	; wave barrier
	ds_write2_b32 v45, v1, v2 offset1:10
	v_pack_b32_f16 v1, v44, v53
	v_pack_b32_f16 v2, v54, v20
	v_sub_f16_e32 v6, v50, v6
	v_sub_f16_e32 v47, v52, v17
	v_sub_f16_e32 v26, v42, v26
	v_sub_f16_e32 v3, v3, v4
	ds_write2_b32 v45, v1, v2 offset0:20 offset1:30
	v_pack_b32_f16 v1, v56, v43
	v_pack_b32_f16 v2, v5, v28
	v_sub_f16_e32 v50, v19, v51
	v_sub_f16_e32 v17, v48, v55
	v_sub_f16_e32 v19, v46, v7
	ds_write2_b32 v45, v1, v2 offset0:40 offset1:50
	v_pack_b32_f16 v1, v6, v26
	v_pack_b32_f16 v2, v47, v3
	ds_write2_b32 v45, v1, v2 offset0:60 offset1:70
	v_pack_b32_f16 v0, v50, v0
	v_pack_b32_f16 v1, v17, v19
	ds_write2_b32 v45, v0, v1 offset0:80 offset1:90
	s_waitcnt lgkmcnt(0)
	; wave barrier
	s_waitcnt lgkmcnt(0)
	ds_read2_b32 v[2:3], v31 offset1:30
	ds_read2_b32 v[0:1], v31 offset0:60 offset1:100
	ds_read2_b32 v[6:7], v31 offset0:200 offset1:230
	;; [unrolled: 1-line block ×3, first 2 shown]
	ds_read_b32 v20, v31 offset:1040
	s_and_saveexec_b64 s[2:3], s[0:1]
	s_cbranch_execz .LBB0_7
; %bb.6:
	ds_read2_b32 v[17:18], v31 offset0:90 offset1:190
	ds_read_b32 v22, v31 offset:1160
	s_waitcnt lgkmcnt(1)
	v_lshrrev_b32_e32 v19, 16, v17
	v_lshrrev_b32_e32 v23, 16, v18
	s_waitcnt lgkmcnt(0)
	v_lshrrev_b32_e32 v24, 16, v22
.LBB0_7:
	s_or_b64 exec, exec, s[2:3]
	s_waitcnt lgkmcnt(3)
	v_lshrrev_b32_e32 v27, 16, v1
	v_mul_f16_sdwa v47, v11, v27 dst_sel:DWORD dst_unused:UNUSED_PAD src0_sel:WORD_1 src1_sel:DWORD
	s_waitcnt lgkmcnt(2)
	v_lshrrev_b32_e32 v28, 16, v6
	v_fma_f16 v47, v11, v1, v47
	v_mul_f16_sdwa v1, v11, v1 dst_sel:DWORD dst_unused:UNUSED_PAD src0_sel:WORD_1 src1_sel:DWORD
	v_fma_f16 v1, v11, v27, -v1
	v_mul_f16_sdwa v11, v12, v28 dst_sel:DWORD dst_unused:UNUSED_PAD src0_sel:WORD_1 src1_sel:DWORD
	s_waitcnt lgkmcnt(1)
	v_lshrrev_b32_e32 v42, 16, v4
	v_fma_f16 v11, v12, v6, v11
	v_mul_f16_sdwa v6, v12, v6 dst_sel:DWORD dst_unused:UNUSED_PAD src0_sel:WORD_1 src1_sel:DWORD
	v_fma_f16 v6, v12, v28, -v6
	v_mul_f16_sdwa v12, v13, v42 dst_sel:DWORD dst_unused:UNUSED_PAD src0_sel:WORD_1 src1_sel:DWORD
	v_lshrrev_b32_e32 v43, 16, v7
	v_fma_f16 v12, v13, v4, v12
	v_mul_f16_sdwa v4, v13, v4 dst_sel:DWORD dst_unused:UNUSED_PAD src0_sel:WORD_1 src1_sel:DWORD
	v_fma_f16 v4, v13, v42, -v4
	v_mul_f16_sdwa v13, v14, v43 dst_sel:DWORD dst_unused:UNUSED_PAD src0_sel:WORD_1 src1_sel:DWORD
	;; [unrolled: 5-line block ×3, first 2 shown]
	s_waitcnt lgkmcnt(0)
	v_lshrrev_b32_e32 v46, 16, v20
	v_fma_f16 v14, v15, v5, v14
	v_mul_f16_sdwa v5, v15, v5 dst_sel:DWORD dst_unused:UNUSED_PAD src0_sel:WORD_1 src1_sel:DWORD
	v_fma_f16 v5, v15, v45, -v5
	v_mul_f16_sdwa v15, v16, v46 dst_sel:DWORD dst_unused:UNUSED_PAD src0_sel:WORD_1 src1_sel:DWORD
	v_fma_f16 v15, v16, v20, v15
	v_mul_f16_sdwa v20, v16, v20 dst_sel:DWORD dst_unused:UNUSED_PAD src0_sel:WORD_1 src1_sel:DWORD
	v_add_f16_e32 v27, v47, v11
	v_lshrrev_b32_e32 v26, 16, v2
	v_fma_f16 v16, v16, v46, -v20
	v_add_f16_e32 v20, v2, v47
	v_fma_f16 v2, v27, -0.5, v2
	v_sub_f16_e32 v27, v1, v6
	s_mov_b32 s6, 0xbaee
	s_movk_i32 s7, 0x3aee
	v_fma_f16 v28, v27, s6, v2
	v_fma_f16 v2, v27, s7, v2
	v_add_f16_e32 v27, v26, v1
	v_add_f16_e32 v1, v1, v6
	;; [unrolled: 1-line block ×3, first 2 shown]
	v_fma_f16 v1, v1, -0.5, v26
	v_sub_f16_e32 v6, v47, v11
	v_add_f16_e32 v26, v12, v13
	v_lshrrev_b32_e32 v41, 16, v3
	v_add_f16_e32 v20, v20, v11
	v_fma_f16 v11, v6, s7, v1
	v_fma_f16 v1, v6, s6, v1
	v_add_f16_e32 v6, v3, v12
	v_fma_f16 v3, v26, -0.5, v3
	v_sub_f16_e32 v26, v4, v7
	v_fma_f16 v42, v26, s6, v3
	v_fma_f16 v3, v26, s7, v3
	v_add_f16_e32 v26, v41, v4
	v_add_f16_e32 v4, v4, v7
	v_add_f16_e32 v6, v6, v13
	v_add_f16_e32 v26, v26, v7
	v_fma_f16 v4, v4, -0.5, v41
	v_sub_f16_e32 v7, v12, v13
	v_add_f16_e32 v13, v14, v15
	v_lshrrev_b32_e32 v44, 16, v0
	v_fma_f16 v12, v7, s7, v4
	v_fma_f16 v4, v7, s6, v4
	v_add_f16_e32 v7, v0, v14
	v_fma_f16 v0, v13, -0.5, v0
	v_sub_f16_e32 v13, v5, v16
	v_fma_f16 v41, v13, s6, v0
	v_fma_f16 v0, v13, s7, v0
	v_add_f16_e32 v13, v44, v5
	v_add_f16_e32 v5, v5, v16
	v_fma_f16 v5, v5, -0.5, v44
	v_sub_f16_e32 v14, v14, v15
	v_add_f16_e32 v7, v7, v15
	v_fma_f16 v15, v14, s7, v5
	v_fma_f16 v5, v14, s6, v5
	v_pack_b32_f16 v14, v20, v27
	v_pack_b32_f16 v1, v2, v1
	ds_write_b32 v31, v14
	v_pack_b32_f16 v11, v28, v11
	ds_write_b32 v21, v1 offset:800
	v_pack_b32_f16 v1, v6, v26
	ds_write_b32 v21, v11 offset:400
	ds_write_b32 v31, v1 offset:120
	v_pack_b32_f16 v1, v42, v12
	v_add_f16_e32 v13, v13, v16
	ds_write_b32 v21, v1 offset:520
	v_pack_b32_f16 v1, v3, v4
	ds_write_b32 v21, v1 offset:920
	v_pack_b32_f16 v1, v7, v13
	;; [unrolled: 2-line block ×3, first 2 shown]
	v_pack_b32_f16 v0, v0, v5
	ds_write2_b32 v25, v1, v0 offset0:100 offset1:200
	s_and_saveexec_b64 s[2:3], s[0:1]
	s_cbranch_execz .LBB0_9
; %bb.8:
	v_mul_f16_sdwa v0, v9, v18 dst_sel:DWORD dst_unused:UNUSED_PAD src0_sel:WORD_1 src1_sel:DWORD
	v_mul_f16_sdwa v1, v10, v22 dst_sel:DWORD dst_unused:UNUSED_PAD src0_sel:WORD_1 src1_sel:DWORD
	v_fma_f16 v0, v9, v23, -v0
	v_fma_f16 v1, v10, v24, -v1
	v_mul_f16_sdwa v3, v9, v23 dst_sel:DWORD dst_unused:UNUSED_PAD src0_sel:WORD_1 src1_sel:DWORD
	v_mul_f16_sdwa v4, v10, v24 dst_sel:DWORD dst_unused:UNUSED_PAD src0_sel:WORD_1 src1_sel:DWORD
	v_add_f16_e32 v2, v0, v1
	v_fma_f16 v3, v9, v18, v3
	v_fma_f16 v4, v10, v22, v4
	v_fma_f16 v2, v2, -0.5, v19
	v_sub_f16_e32 v5, v3, v4
	v_add_f16_e32 v7, v3, v4
	v_fma_f16 v6, v5, s6, v2
	v_fma_f16 v2, v5, s7, v2
	v_add_f16_e32 v5, v19, v0
	v_fma_f16 v7, v7, -0.5, v17
	v_sub_f16_e32 v0, v0, v1
	v_add_f16_e32 v3, v17, v3
	v_add_f16_e32 v5, v5, v1
	v_fma_f16 v1, v0, s7, v7
	v_fma_f16 v0, v0, s6, v7
	v_add_f16_e32 v3, v3, v4
	v_pack_b32_f16 v3, v3, v5
	v_pack_b32_f16 v0, v0, v2
	;; [unrolled: 1-line block ×3, first 2 shown]
	v_add_u32_e32 v2, 0x200, v21
	ds_write_b32 v31, v3 offset:360
	ds_write2_b32 v2, v0, v1 offset0:62 offset1:162
.LBB0_9:
	s_or_b64 exec, exec, s[2:3]
	s_waitcnt lgkmcnt(0)
	; wave barrier
	s_waitcnt lgkmcnt(0)
	ds_read2_b32 v[0:1], v31 offset1:30
	s_mov_b32 s2, 0xb4e81b4f
	s_mov_b32 s3, 0x3f6b4e81
	v_mad_u64_u32 v[4:5], s[0:1], s10, v8, 0
	s_waitcnt lgkmcnt(0)
	v_lshrrev_b32_e32 v7, 16, v0
	v_mul_f16_sdwa v2, v40, v7 dst_sel:DWORD dst_unused:UNUSED_PAD src0_sel:WORD_1 src1_sel:DWORD
	v_fma_f16 v2, v40, v0, v2
	v_cvt_f32_f16_e32 v2, v2
	s_movk_i32 s6, 0x1ff
	v_mad_u64_u32 v[5:6], s[0:1], s11, v8, v[5:6]
	v_cvt_f64_f32_e32 v[2:3], v2
	s_movk_i32 s7, 0xffe
	v_mul_f16_sdwa v0, v40, v0 dst_sel:DWORD dst_unused:UNUSED_PAD src0_sel:WORD_1 src1_sel:DWORD
	v_fma_f16 v0, v40, v7, -v0
	v_mul_f64 v[2:3], v[2:3], s[2:3]
	v_cvt_f32_f16_e32 v7, v0
	v_mov_b32_e32 v0, 0x7c00
	s_movk_i32 s10, 0x40f
	s_mov_b32 s11, 0x8000
	v_lshrrev_b32_e32 v11, 16, v1
	v_and_or_b32 v2, v3, s6, v2
	v_cmp_ne_u32_e32 vcc, 0, v2
	v_lshrrev_b32_e32 v6, 8, v3
	v_bfe_u32 v8, v3, 20, 11
	v_cndmask_b32_e64 v2, 0, 1, vcc
	v_sub_u32_e32 v9, 0x3f1, v8
	v_and_or_b32 v2, v6, s7, v2
	v_med3_i32 v6, v9, 0, 13
	v_or_b32_e32 v9, 0x1000, v2
	v_lshrrev_b32_e32 v10, v6, v9
	v_lshlrev_b32_e32 v6, v6, v10
	v_cmp_ne_u32_e32 vcc, v6, v9
	v_cndmask_b32_e64 v6, 0, 1, vcc
	v_add_u32_e32 v8, 0xfffffc10, v8
	v_or_b32_e32 v6, v10, v6
	v_lshl_or_b32 v9, v8, 12, v2
	v_cmp_gt_i32_e32 vcc, 1, v8
	v_cndmask_b32_e32 v6, v9, v6, vcc
	v_and_b32_e32 v9, 7, v6
	v_cmp_lt_i32_e32 vcc, 5, v9
	v_cmp_eq_u32_e64 s[0:1], 3, v9
	v_lshrrev_b32_e32 v6, 2, v6
	s_or_b64 vcc, s[0:1], vcc
	v_addc_co_u32_e32 v9, vcc, 0, v6, vcc
	v_cvt_f64_f32_e32 v[6:7], v7
	v_cmp_gt_i32_e32 vcc, 31, v8
	v_cndmask_b32_e32 v9, v0, v9, vcc
	v_cmp_ne_u32_e32 vcc, 0, v2
	v_mul_f64 v[6:7], v[6:7], s[2:3]
	v_cndmask_b32_e64 v2, 0, 1, vcc
	v_lshl_or_b32 v2, v2, 9, v0
	v_cmp_eq_u32_e32 vcc, s10, v8
	v_cndmask_b32_e32 v2, v9, v2, vcc
	v_lshrrev_b32_e32 v3, 16, v3
	v_and_or_b32 v8, v3, s11, v2
	v_and_b32_e32 v8, 0xffff, v8
	v_and_or_b32 v2, v7, s6, v6
	v_cmp_ne_u32_e32 vcc, 0, v2
	v_cndmask_b32_e64 v2, 0, 1, vcc
	v_lshrrev_b32_e32 v3, 8, v7
	v_bfe_u32 v6, v7, 20, 11
	v_and_or_b32 v2, v3, s7, v2
	v_sub_u32_e32 v9, 0x3f1, v6
	v_or_b32_e32 v3, 0x1000, v2
	v_med3_i32 v9, v9, 0, 13
	v_lshrrev_b32_e32 v10, v9, v3
	v_lshlrev_b32_e32 v9, v9, v10
	v_cmp_ne_u32_e32 vcc, v9, v3
	v_cndmask_b32_e64 v3, 0, 1, vcc
	v_add_u32_e32 v6, 0xfffffc10, v6
	v_or_b32_e32 v3, v10, v3
	v_lshl_or_b32 v9, v6, 12, v2
	v_cmp_gt_i32_e32 vcc, 1, v6
	v_cndmask_b32_e32 v3, v9, v3, vcc
	v_and_b32_e32 v9, 7, v3
	v_cmp_lt_i32_e32 vcc, 5, v9
	v_cmp_eq_u32_e64 s[0:1], 3, v9
	v_lshrrev_b32_e32 v3, 2, v3
	s_or_b64 vcc, s[0:1], vcc
	v_addc_co_u32_e32 v3, vcc, 0, v3, vcc
	v_cmp_gt_i32_e32 vcc, 31, v6
	v_cndmask_b32_e32 v9, v0, v3, vcc
	v_cmp_ne_u32_e32 vcc, 0, v2
	v_cndmask_b32_e64 v2, 0, 1, vcc
	v_lshl_or_b32 v10, v2, 9, v0
	v_mad_u64_u32 v[2:3], s[0:1], s8, v38, 0
	v_cmp_eq_u32_e32 vcc, s10, v6
	v_cndmask_b32_e32 v9, v9, v10, vcc
	v_lshrrev_b32_e32 v10, 16, v7
	v_mad_u64_u32 v[6:7], s[0:1], s9, v38, v[3:4]
	v_mul_f16_sdwa v3, v39, v11 dst_sel:DWORD dst_unused:UNUSED_PAD src0_sel:WORD_1 src1_sel:DWORD
	v_fma_f16 v3, v39, v1, v3
	v_cvt_f32_f16_e32 v7, v3
	v_mov_b32_e32 v3, v6
	v_lshlrev_b64 v[4:5], 2, v[4:5]
	v_and_or_b32 v9, v10, s11, v9
	v_cvt_f64_f32_e32 v[6:7], v7
	v_lshl_or_b32 v8, v9, 16, v8
	v_mov_b32_e32 v9, s5
	v_add_co_u32_e32 v4, vcc, s4, v4
	v_mul_f64 v[6:7], v[6:7], s[2:3]
	v_lshlrev_b64 v[2:3], 2, v[2:3]
	v_addc_co_u32_e32 v5, vcc, v9, v5, vcc
	v_add_co_u32_e32 v2, vcc, v4, v2
	v_addc_co_u32_e32 v3, vcc, v5, v3, vcc
	v_and_or_b32 v4, v7, s6, v6
	v_cmp_ne_u32_e32 vcc, 0, v4
	v_cndmask_b32_e64 v4, 0, 1, vcc
	v_lshrrev_b32_e32 v5, 8, v7
	v_and_or_b32 v6, v5, s7, v4
	v_bfe_u32 v5, v7, 20, 11
	global_store_dword v[2:3], v8, off
	v_sub_u32_e32 v8, 0x3f1, v5
	v_or_b32_e32 v4, 0x1000, v6
	v_med3_i32 v8, v8, 0, 13
	v_lshrrev_b32_e32 v9, v8, v4
	v_lshlrev_b32_e32 v8, v8, v9
	v_mul_f16_sdwa v1, v39, v1 dst_sel:DWORD dst_unused:UNUSED_PAD src0_sel:WORD_1 src1_sel:DWORD
	v_cmp_ne_u32_e32 vcc, v8, v4
	v_fma_f16 v1, v39, v11, -v1
	v_cndmask_b32_e64 v4, 0, 1, vcc
	v_add_u32_e32 v8, 0xfffffc10, v5
	v_cvt_f32_f16_e32 v1, v1
	v_or_b32_e32 v4, v9, v4
	v_lshl_or_b32 v5, v8, 12, v6
	v_cmp_gt_i32_e32 vcc, 1, v8
	v_cndmask_b32_e32 v4, v5, v4, vcc
	v_and_b32_e32 v5, 7, v4
	v_cmp_lt_i32_e32 vcc, 5, v5
	v_cmp_eq_u32_e64 s[0:1], 3, v5
	v_lshrrev_b32_e32 v9, 2, v4
	v_cvt_f64_f32_e32 v[4:5], v1
	s_or_b64 vcc, s[0:1], vcc
	v_addc_co_u32_e32 v1, vcc, 0, v9, vcc
	v_mul_f64 v[4:5], v[4:5], s[2:3]
	v_cmp_gt_i32_e32 vcc, 31, v8
	v_cndmask_b32_e32 v1, v0, v1, vcc
	v_cmp_ne_u32_e32 vcc, 0, v6
	v_cndmask_b32_e64 v6, 0, 1, vcc
	v_lshl_or_b32 v6, v6, 9, v0
	v_cmp_eq_u32_e32 vcc, s10, v8
	v_cndmask_b32_e32 v1, v1, v6, vcc
	v_and_or_b32 v4, v5, s6, v4
	v_lshrrev_b32_e32 v6, 16, v7
	v_cmp_ne_u32_e32 vcc, 0, v4
	v_and_or_b32 v1, v6, s11, v1
	v_cndmask_b32_e64 v4, 0, 1, vcc
	v_lshrrev_b32_e32 v6, 8, v5
	v_bfe_u32 v7, v5, 20, 11
	v_and_or_b32 v4, v6, s7, v4
	v_sub_u32_e32 v8, 0x3f1, v7
	v_or_b32_e32 v6, 0x1000, v4
	v_med3_i32 v8, v8, 0, 13
	v_lshrrev_b32_e32 v9, v8, v6
	v_lshlrev_b32_e32 v8, v8, v9
	v_cmp_ne_u32_e32 vcc, v8, v6
	v_cndmask_b32_e64 v6, 0, 1, vcc
	v_add_u32_e32 v8, 0xfffffc10, v7
	v_or_b32_e32 v6, v9, v6
	v_lshl_or_b32 v7, v8, 12, v4
	v_cmp_gt_i32_e32 vcc, 1, v8
	v_cndmask_b32_e32 v6, v7, v6, vcc
	v_and_b32_e32 v7, 7, v6
	v_cmp_lt_i32_e32 vcc, 5, v7
	v_cmp_eq_u32_e64 s[0:1], 3, v7
	v_lshrrev_b32_e32 v6, 2, v6
	s_or_b64 vcc, s[0:1], vcc
	v_addc_co_u32_e32 v6, vcc, 0, v6, vcc
	v_cmp_gt_i32_e32 vcc, 31, v8
	v_cndmask_b32_e32 v9, v0, v6, vcc
	ds_read2_b32 v[6:7], v31 offset0:60 offset1:90
	v_cmp_ne_u32_e32 vcc, 0, v4
	v_cndmask_b32_e64 v4, 0, 1, vcc
	v_lshl_or_b32 v4, v4, 9, v0
	v_cmp_eq_u32_e32 vcc, s10, v8
	s_waitcnt lgkmcnt(0)
	v_lshrrev_b32_e32 v8, 16, v6
	v_cndmask_b32_e32 v4, v9, v4, vcc
	v_mul_f16_sdwa v9, v37, v8 dst_sel:DWORD dst_unused:UNUSED_PAD src0_sel:WORD_1 src1_sel:DWORD
	v_fma_f16 v9, v37, v6, v9
	v_cvt_f32_f16_e32 v9, v9
	v_lshrrev_b32_e32 v5, 16, v5
	v_and_or_b32 v4, v5, s11, v4
	v_and_b32_e32 v1, 0xffff, v1
	v_lshl_or_b32 v10, v4, 16, v1
	v_cvt_f64_f32_e32 v[4:5], v9
	s_mul_i32 s0, s9, 0x78
	s_mul_hi_u32 s4, s8, 0x78
	s_add_i32 s4, s4, s0
	v_mul_f64 v[4:5], v[4:5], s[2:3]
	s_mul_i32 s5, s8, 0x78
	v_mov_b32_e32 v9, s4
	v_add_co_u32_e32 v1, vcc, s5, v2
	v_addc_co_u32_e32 v2, vcc, v3, v9, vcc
	global_store_dword v[1:2], v10, off
	v_and_or_b32 v3, v5, s6, v4
	v_cmp_ne_u32_e32 vcc, 0, v3
	v_cndmask_b32_e64 v3, 0, 1, vcc
	v_lshrrev_b32_e32 v4, 8, v5
	v_and_or_b32 v9, v4, s7, v3
	v_bfe_u32 v4, v5, 20, 11
	v_sub_u32_e32 v10, 0x3f1, v4
	v_or_b32_e32 v3, 0x1000, v9
	v_med3_i32 v10, v10, 0, 13
	v_lshrrev_b32_e32 v11, v10, v3
	v_lshlrev_b32_e32 v10, v10, v11
	v_mul_f16_sdwa v6, v37, v6 dst_sel:DWORD dst_unused:UNUSED_PAD src0_sel:WORD_1 src1_sel:DWORD
	v_cmp_ne_u32_e32 vcc, v10, v3
	v_fma_f16 v6, v37, v8, -v6
	v_cndmask_b32_e64 v3, 0, 1, vcc
	v_add_u32_e32 v10, 0xfffffc10, v4
	v_cvt_f32_f16_e32 v6, v6
	v_or_b32_e32 v3, v11, v3
	v_lshl_or_b32 v4, v10, 12, v9
	v_cmp_gt_i32_e32 vcc, 1, v10
	v_cndmask_b32_e32 v3, v4, v3, vcc
	v_and_b32_e32 v4, 7, v3
	v_cmp_lt_i32_e32 vcc, 5, v4
	v_cmp_eq_u32_e64 s[0:1], 3, v4
	v_lshrrev_b32_e32 v8, 2, v3
	v_cvt_f64_f32_e32 v[3:4], v6
	s_or_b64 vcc, s[0:1], vcc
	v_addc_co_u32_e32 v6, vcc, 0, v8, vcc
	v_mul_f64 v[3:4], v[3:4], s[2:3]
	v_cmp_gt_i32_e32 vcc, 31, v10
	v_cndmask_b32_e32 v6, v0, v6, vcc
	v_cmp_ne_u32_e32 vcc, 0, v9
	v_cndmask_b32_e64 v8, 0, 1, vcc
	v_lshl_or_b32 v8, v8, 9, v0
	v_cmp_eq_u32_e32 vcc, s10, v10
	v_cndmask_b32_e32 v6, v6, v8, vcc
	v_and_or_b32 v3, v4, s6, v3
	v_lshrrev_b32_e32 v5, 16, v5
	v_cmp_ne_u32_e32 vcc, 0, v3
	v_and_or_b32 v8, v5, s11, v6
	v_cndmask_b32_e64 v3, 0, 1, vcc
	v_lshrrev_b32_e32 v5, 8, v4
	v_bfe_u32 v6, v4, 20, 11
	v_and_or_b32 v3, v5, s7, v3
	v_sub_u32_e32 v9, 0x3f1, v6
	v_or_b32_e32 v5, 0x1000, v3
	v_med3_i32 v9, v9, 0, 13
	v_lshrrev_b32_e32 v10, v9, v5
	v_lshlrev_b32_e32 v9, v9, v10
	v_cmp_ne_u32_e32 vcc, v9, v5
	v_cndmask_b32_e64 v5, 0, 1, vcc
	v_add_u32_e32 v6, 0xfffffc10, v6
	v_or_b32_e32 v5, v10, v5
	v_lshl_or_b32 v9, v6, 12, v3
	v_cmp_gt_i32_e32 vcc, 1, v6
	v_cndmask_b32_e32 v5, v9, v5, vcc
	v_and_b32_e32 v9, 7, v5
	v_cmp_lt_i32_e32 vcc, 5, v9
	v_cmp_eq_u32_e64 s[0:1], 3, v9
	v_lshrrev_b32_e32 v9, 16, v7
	v_lshrrev_b32_e32 v5, 2, v5
	s_or_b64 vcc, s[0:1], vcc
	v_mul_f16_sdwa v10, v36, v9 dst_sel:DWORD dst_unused:UNUSED_PAD src0_sel:WORD_1 src1_sel:DWORD
	v_addc_co_u32_e32 v5, vcc, 0, v5, vcc
	v_fma_f16 v10, v36, v7, v10
	v_cmp_gt_i32_e32 vcc, 31, v6
	v_cvt_f32_f16_e32 v10, v10
	v_cndmask_b32_e32 v5, v0, v5, vcc
	v_cmp_ne_u32_e32 vcc, 0, v3
	v_cndmask_b32_e64 v3, 0, 1, vcc
	v_lshl_or_b32 v3, v3, 9, v0
	v_cmp_eq_u32_e32 vcc, s10, v6
	v_cndmask_b32_e32 v3, v5, v3, vcc
	v_cvt_f64_f32_e32 v[5:6], v10
	v_lshrrev_b32_e32 v4, 16, v4
	v_and_or_b32 v10, v4, s11, v3
	v_add_co_u32_e32 v1, vcc, s5, v1
	v_mul_f64 v[3:4], v[5:6], s[2:3]
	v_mov_b32_e32 v6, s4
	v_and_b32_e32 v8, 0xffff, v8
	v_addc_co_u32_e32 v2, vcc, v2, v6, vcc
	v_lshl_or_b32 v5, v10, 16, v8
	global_store_dword v[1:2], v5, off
	v_mul_f16_sdwa v7, v36, v7 dst_sel:DWORD dst_unused:UNUSED_PAD src0_sel:WORD_1 src1_sel:DWORD
	v_and_or_b32 v3, v4, s6, v3
	v_cmp_ne_u32_e32 vcc, 0, v3
	v_cndmask_b32_e64 v3, 0, 1, vcc
	v_lshrrev_b32_e32 v5, 8, v4
	v_bfe_u32 v6, v4, 20, 11
	v_and_or_b32 v3, v5, s7, v3
	v_sub_u32_e32 v8, 0x3f1, v6
	v_or_b32_e32 v5, 0x1000, v3
	v_med3_i32 v8, v8, 0, 13
	v_lshrrev_b32_e32 v10, v8, v5
	v_lshlrev_b32_e32 v8, v8, v10
	v_cmp_ne_u32_e32 vcc, v8, v5
	v_fma_f16 v7, v36, v9, -v7
	v_cndmask_b32_e64 v5, 0, 1, vcc
	v_add_u32_e32 v8, 0xfffffc10, v6
	v_cvt_f32_f16_e32 v7, v7
	v_or_b32_e32 v5, v10, v5
	v_lshl_or_b32 v6, v8, 12, v3
	v_cmp_gt_i32_e32 vcc, 1, v8
	v_cndmask_b32_e32 v5, v6, v5, vcc
	v_and_b32_e32 v6, 7, v5
	v_cmp_lt_i32_e32 vcc, 5, v6
	v_cmp_eq_u32_e64 s[0:1], 3, v6
	v_lshrrev_b32_e32 v9, 2, v5
	v_cvt_f64_f32_e32 v[5:6], v7
	s_or_b64 vcc, s[0:1], vcc
	v_addc_co_u32_e32 v7, vcc, 0, v9, vcc
	v_mul_f64 v[5:6], v[5:6], s[2:3]
	v_cmp_gt_i32_e32 vcc, 31, v8
	v_cndmask_b32_e32 v7, v0, v7, vcc
	v_cmp_ne_u32_e32 vcc, 0, v3
	v_cndmask_b32_e64 v3, 0, 1, vcc
	v_lshl_or_b32 v3, v3, 9, v0
	v_cmp_eq_u32_e32 vcc, s10, v8
	v_cndmask_b32_e32 v3, v7, v3, vcc
	v_lshrrev_b32_e32 v4, 16, v4
	v_and_or_b32 v9, v4, s11, v3
	v_and_or_b32 v3, v6, s6, v5
	v_cmp_ne_u32_e32 vcc, 0, v3
	v_cndmask_b32_e64 v3, 0, 1, vcc
	v_lshrrev_b32_e32 v4, 8, v6
	v_and_or_b32 v5, v4, s7, v3
	v_bfe_u32 v4, v6, 20, 11
	v_sub_u32_e32 v7, 0x3f1, v4
	v_or_b32_e32 v3, 0x1000, v5
	v_med3_i32 v7, v7, 0, 13
	v_lshrrev_b32_e32 v8, v7, v3
	v_lshlrev_b32_e32 v7, v7, v8
	v_cmp_ne_u32_e32 vcc, v7, v3
	v_cndmask_b32_e64 v3, 0, 1, vcc
	v_add_u32_e32 v7, 0xfffffc10, v4
	v_or_b32_e32 v3, v8, v3
	v_lshl_or_b32 v4, v7, 12, v5
	v_cmp_gt_i32_e32 vcc, 1, v7
	v_cndmask_b32_e32 v3, v4, v3, vcc
	v_and_b32_e32 v4, 7, v3
	v_cmp_lt_i32_e32 vcc, 5, v4
	v_cmp_eq_u32_e64 s[0:1], 3, v4
	v_lshrrev_b32_e32 v3, 2, v3
	s_or_b64 vcc, s[0:1], vcc
	v_addc_co_u32_e32 v8, vcc, 0, v3, vcc
	ds_read2_b32 v[3:4], v31 offset0:120 offset1:150
	v_cmp_gt_i32_e32 vcc, 31, v7
	v_cndmask_b32_e32 v8, v0, v8, vcc
	v_cmp_ne_u32_e32 vcc, 0, v5
	v_cndmask_b32_e64 v5, 0, 1, vcc
	s_waitcnt lgkmcnt(0)
	v_lshrrev_b32_e32 v10, 16, v3
	v_mul_f16_sdwa v11, v35, v10 dst_sel:DWORD dst_unused:UNUSED_PAD src0_sel:WORD_1 src1_sel:DWORD
	v_fma_f16 v11, v35, v3, v11
	v_cvt_f32_f16_e32 v11, v11
	v_lshl_or_b32 v5, v5, 9, v0
	v_cmp_eq_u32_e32 vcc, s10, v7
	v_cndmask_b32_e32 v5, v8, v5, vcc
	v_cvt_f64_f32_e32 v[7:8], v11
	v_lshrrev_b32_e32 v6, 16, v6
	v_and_or_b32 v11, v6, s11, v5
	v_add_co_u32_e32 v1, vcc, s5, v1
	v_mul_f64 v[5:6], v[7:8], s[2:3]
	v_mov_b32_e32 v8, s4
	v_and_b32_e32 v9, 0xffff, v9
	v_addc_co_u32_e32 v2, vcc, v2, v8, vcc
	v_lshl_or_b32 v7, v11, 16, v9
	global_store_dword v[1:2], v7, off
	v_mul_f16_sdwa v3, v35, v3 dst_sel:DWORD dst_unused:UNUSED_PAD src0_sel:WORD_1 src1_sel:DWORD
	v_and_or_b32 v5, v6, s6, v5
	v_cmp_ne_u32_e32 vcc, 0, v5
	v_cndmask_b32_e64 v5, 0, 1, vcc
	v_lshrrev_b32_e32 v7, 8, v6
	v_bfe_u32 v8, v6, 20, 11
	v_and_or_b32 v5, v7, s7, v5
	v_sub_u32_e32 v9, 0x3f1, v8
	v_or_b32_e32 v7, 0x1000, v5
	v_med3_i32 v9, v9, 0, 13
	v_lshrrev_b32_e32 v11, v9, v7
	v_lshlrev_b32_e32 v9, v9, v11
	v_cmp_ne_u32_e32 vcc, v9, v7
	v_fma_f16 v3, v35, v10, -v3
	v_cndmask_b32_e64 v7, 0, 1, vcc
	v_add_u32_e32 v9, 0xfffffc10, v8
	v_cvt_f32_f16_e32 v3, v3
	v_or_b32_e32 v7, v11, v7
	v_lshl_or_b32 v8, v9, 12, v5
	v_cmp_gt_i32_e32 vcc, 1, v9
	v_cndmask_b32_e32 v7, v8, v7, vcc
	v_and_b32_e32 v8, 7, v7
	v_cmp_lt_i32_e32 vcc, 5, v8
	v_cmp_eq_u32_e64 s[0:1], 3, v8
	v_lshrrev_b32_e32 v10, 2, v7
	v_cvt_f64_f32_e32 v[7:8], v3
	s_or_b64 vcc, s[0:1], vcc
	v_addc_co_u32_e32 v3, vcc, 0, v10, vcc
	v_mul_f64 v[7:8], v[7:8], s[2:3]
	v_cmp_gt_i32_e32 vcc, 31, v9
	v_cndmask_b32_e32 v3, v0, v3, vcc
	v_cmp_ne_u32_e32 vcc, 0, v5
	v_cndmask_b32_e64 v5, 0, 1, vcc
	v_lshl_or_b32 v5, v5, 9, v0
	v_cmp_eq_u32_e32 vcc, s10, v9
	v_cndmask_b32_e32 v3, v3, v5, vcc
	v_lshrrev_b32_e32 v5, 16, v6
	v_and_or_b32 v3, v5, s11, v3
	v_and_or_b32 v5, v8, s6, v7
	v_cmp_ne_u32_e32 vcc, 0, v5
	v_cndmask_b32_e64 v5, 0, 1, vcc
	v_lshrrev_b32_e32 v6, 8, v8
	v_bfe_u32 v7, v8, 20, 11
	v_and_or_b32 v5, v6, s7, v5
	v_sub_u32_e32 v9, 0x3f1, v7
	v_or_b32_e32 v6, 0x1000, v5
	v_med3_i32 v9, v9, 0, 13
	v_lshrrev_b32_e32 v10, v9, v6
	v_lshlrev_b32_e32 v9, v9, v10
	v_cmp_ne_u32_e32 vcc, v9, v6
	v_cndmask_b32_e64 v6, 0, 1, vcc
	v_add_u32_e32 v7, 0xfffffc10, v7
	v_or_b32_e32 v6, v10, v6
	v_lshl_or_b32 v9, v7, 12, v5
	v_cmp_gt_i32_e32 vcc, 1, v7
	v_cndmask_b32_e32 v6, v9, v6, vcc
	v_and_b32_e32 v9, 7, v6
	v_cmp_lt_i32_e32 vcc, 5, v9
	v_cmp_eq_u32_e64 s[0:1], 3, v9
	v_lshrrev_b32_e32 v9, 16, v4
	v_lshrrev_b32_e32 v6, 2, v6
	s_or_b64 vcc, s[0:1], vcc
	v_mul_f16_sdwa v10, v34, v9 dst_sel:DWORD dst_unused:UNUSED_PAD src0_sel:WORD_1 src1_sel:DWORD
	v_addc_co_u32_e32 v6, vcc, 0, v6, vcc
	v_fma_f16 v10, v34, v4, v10
	v_cmp_gt_i32_e32 vcc, 31, v7
	v_cvt_f32_f16_e32 v10, v10
	v_cndmask_b32_e32 v6, v0, v6, vcc
	v_cmp_ne_u32_e32 vcc, 0, v5
	v_cndmask_b32_e64 v5, 0, 1, vcc
	v_lshl_or_b32 v5, v5, 9, v0
	v_cmp_eq_u32_e32 vcc, s10, v7
	v_cndmask_b32_e32 v7, v6, v5, vcc
	v_cvt_f64_f32_e32 v[5:6], v10
	v_lshrrev_b32_e32 v8, 16, v8
	v_and_or_b32 v7, v8, s11, v7
	v_and_b32_e32 v3, 0xffff, v3
	v_mul_f64 v[5:6], v[5:6], s[2:3]
	v_lshl_or_b32 v3, v7, 16, v3
	v_mov_b32_e32 v7, s4
	v_add_co_u32_e32 v1, vcc, s5, v1
	v_addc_co_u32_e32 v2, vcc, v2, v7, vcc
	global_store_dword v[1:2], v3, off
	v_and_or_b32 v3, v6, s6, v5
	v_cmp_ne_u32_e32 vcc, 0, v3
	v_cndmask_b32_e64 v3, 0, 1, vcc
	v_lshrrev_b32_e32 v5, 8, v6
	v_bfe_u32 v7, v6, 20, 11
	v_and_or_b32 v5, v5, s7, v3
	v_sub_u32_e32 v8, 0x3f1, v7
	v_or_b32_e32 v3, 0x1000, v5
	v_med3_i32 v8, v8, 0, 13
	v_lshrrev_b32_e32 v10, v8, v3
	v_lshlrev_b32_e32 v8, v8, v10
	v_mul_f16_sdwa v4, v34, v4 dst_sel:DWORD dst_unused:UNUSED_PAD src0_sel:WORD_1 src1_sel:DWORD
	v_cmp_ne_u32_e32 vcc, v8, v3
	v_fma_f16 v4, v34, v9, -v4
	v_cndmask_b32_e64 v3, 0, 1, vcc
	v_add_u32_e32 v7, 0xfffffc10, v7
	v_cvt_f32_f16_e32 v4, v4
	v_or_b32_e32 v3, v10, v3
	v_lshl_or_b32 v8, v7, 12, v5
	v_cmp_gt_i32_e32 vcc, 1, v7
	v_cndmask_b32_e32 v3, v8, v3, vcc
	v_and_b32_e32 v8, 7, v3
	v_cmp_lt_i32_e32 vcc, 5, v8
	v_cmp_eq_u32_e64 s[0:1], 3, v8
	v_lshrrev_b32_e32 v8, 2, v3
	v_cvt_f64_f32_e32 v[3:4], v4
	s_or_b64 vcc, s[0:1], vcc
	v_addc_co_u32_e32 v8, vcc, 0, v8, vcc
	v_mul_f64 v[3:4], v[3:4], s[2:3]
	v_cmp_gt_i32_e32 vcc, 31, v7
	v_cndmask_b32_e32 v8, v0, v8, vcc
	v_cmp_ne_u32_e32 vcc, 0, v5
	v_cndmask_b32_e64 v5, 0, 1, vcc
	v_lshl_or_b32 v5, v5, 9, v0
	v_cmp_eq_u32_e32 vcc, s10, v7
	v_cndmask_b32_e32 v5, v8, v5, vcc
	v_and_or_b32 v3, v4, s6, v3
	v_lshrrev_b32_e32 v6, 16, v6
	v_cmp_ne_u32_e32 vcc, 0, v3
	v_and_or_b32 v9, v6, s11, v5
	v_cndmask_b32_e64 v3, 0, 1, vcc
	v_lshrrev_b32_e32 v5, 8, v4
	v_bfe_u32 v6, v4, 20, 11
	v_and_or_b32 v3, v5, s7, v3
	v_sub_u32_e32 v7, 0x3f1, v6
	v_or_b32_e32 v5, 0x1000, v3
	v_med3_i32 v7, v7, 0, 13
	v_lshrrev_b32_e32 v8, v7, v5
	v_lshlrev_b32_e32 v7, v7, v8
	v_cmp_ne_u32_e32 vcc, v7, v5
	v_cndmask_b32_e64 v5, 0, 1, vcc
	v_add_u32_e32 v7, 0xfffffc10, v6
	v_or_b32_e32 v5, v8, v5
	v_lshl_or_b32 v6, v7, 12, v3
	v_cmp_gt_i32_e32 vcc, 1, v7
	v_cndmask_b32_e32 v5, v6, v5, vcc
	v_and_b32_e32 v6, 7, v5
	v_cmp_lt_i32_e32 vcc, 5, v6
	v_cmp_eq_u32_e64 s[0:1], 3, v6
	v_lshrrev_b32_e32 v5, 2, v5
	s_or_b64 vcc, s[0:1], vcc
	v_addc_co_u32_e32 v8, vcc, 0, v5, vcc
	ds_read2_b32 v[5:6], v31 offset0:180 offset1:210
	v_cmp_gt_i32_e32 vcc, 31, v7
	v_cndmask_b32_e32 v8, v0, v8, vcc
	v_cmp_ne_u32_e32 vcc, 0, v3
	v_cndmask_b32_e64 v3, 0, 1, vcc
	s_waitcnt lgkmcnt(0)
	v_lshrrev_b32_e32 v10, 16, v5
	v_mul_f16_sdwa v11, v33, v10 dst_sel:DWORD dst_unused:UNUSED_PAD src0_sel:WORD_1 src1_sel:DWORD
	v_fma_f16 v11, v33, v5, v11
	v_cvt_f32_f16_e32 v11, v11
	v_lshl_or_b32 v3, v3, 9, v0
	v_cmp_eq_u32_e32 vcc, s10, v7
	v_cndmask_b32_e32 v3, v8, v3, vcc
	v_cvt_f64_f32_e32 v[7:8], v11
	v_lshrrev_b32_e32 v4, 16, v4
	v_and_or_b32 v11, v4, s11, v3
	v_add_co_u32_e32 v1, vcc, s5, v1
	v_mul_f64 v[3:4], v[7:8], s[2:3]
	v_mov_b32_e32 v8, s4
	v_and_b32_e32 v9, 0xffff, v9
	v_addc_co_u32_e32 v2, vcc, v2, v8, vcc
	v_lshl_or_b32 v7, v11, 16, v9
	global_store_dword v[1:2], v7, off
	v_mul_f16_sdwa v5, v33, v5 dst_sel:DWORD dst_unused:UNUSED_PAD src0_sel:WORD_1 src1_sel:DWORD
	v_and_or_b32 v3, v4, s6, v3
	v_cmp_ne_u32_e32 vcc, 0, v3
	v_cndmask_b32_e64 v3, 0, 1, vcc
	v_lshrrev_b32_e32 v7, 8, v4
	v_bfe_u32 v8, v4, 20, 11
	v_and_or_b32 v3, v7, s7, v3
	v_sub_u32_e32 v9, 0x3f1, v8
	v_or_b32_e32 v7, 0x1000, v3
	v_med3_i32 v9, v9, 0, 13
	v_lshrrev_b32_e32 v11, v9, v7
	v_lshlrev_b32_e32 v9, v9, v11
	v_cmp_ne_u32_e32 vcc, v9, v7
	v_fma_f16 v5, v33, v10, -v5
	v_cndmask_b32_e64 v7, 0, 1, vcc
	v_add_u32_e32 v9, 0xfffffc10, v8
	v_cvt_f32_f16_e32 v5, v5
	v_or_b32_e32 v7, v11, v7
	v_lshl_or_b32 v8, v9, 12, v3
	v_cmp_gt_i32_e32 vcc, 1, v9
	v_cndmask_b32_e32 v7, v8, v7, vcc
	v_and_b32_e32 v8, 7, v7
	v_cmp_lt_i32_e32 vcc, 5, v8
	v_cmp_eq_u32_e64 s[0:1], 3, v8
	v_lshrrev_b32_e32 v10, 2, v7
	v_cvt_f64_f32_e32 v[7:8], v5
	s_or_b64 vcc, s[0:1], vcc
	v_addc_co_u32_e32 v5, vcc, 0, v10, vcc
	v_mul_f64 v[7:8], v[7:8], s[2:3]
	v_cmp_gt_i32_e32 vcc, 31, v9
	v_cndmask_b32_e32 v5, v0, v5, vcc
	v_cmp_ne_u32_e32 vcc, 0, v3
	v_cndmask_b32_e64 v3, 0, 1, vcc
	v_lshl_or_b32 v3, v3, 9, v0
	v_cmp_eq_u32_e32 vcc, s10, v9
	v_cndmask_b32_e32 v3, v5, v3, vcc
	v_lshrrev_b32_e32 v4, 16, v4
	v_and_or_b32 v5, v4, s11, v3
	v_and_or_b32 v3, v8, s6, v7
	v_cmp_ne_u32_e32 vcc, 0, v3
	v_cndmask_b32_e64 v3, 0, 1, vcc
	v_lshrrev_b32_e32 v4, 8, v8
	v_bfe_u32 v7, v8, 20, 11
	v_and_or_b32 v3, v4, s7, v3
	v_sub_u32_e32 v9, 0x3f1, v7
	v_or_b32_e32 v4, 0x1000, v3
	v_med3_i32 v9, v9, 0, 13
	v_lshrrev_b32_e32 v10, v9, v4
	v_lshlrev_b32_e32 v9, v9, v10
	v_cmp_ne_u32_e32 vcc, v9, v4
	v_cndmask_b32_e64 v4, 0, 1, vcc
	v_add_u32_e32 v7, 0xfffffc10, v7
	v_or_b32_e32 v4, v10, v4
	v_lshl_or_b32 v9, v7, 12, v3
	v_cmp_gt_i32_e32 vcc, 1, v7
	v_cndmask_b32_e32 v4, v9, v4, vcc
	v_and_b32_e32 v9, 7, v4
	v_cmp_lt_i32_e32 vcc, 5, v9
	v_cmp_eq_u32_e64 s[0:1], 3, v9
	v_lshrrev_b32_e32 v9, 16, v6
	v_lshrrev_b32_e32 v4, 2, v4
	s_or_b64 vcc, s[0:1], vcc
	v_mul_f16_sdwa v10, v32, v9 dst_sel:DWORD dst_unused:UNUSED_PAD src0_sel:WORD_1 src1_sel:DWORD
	v_addc_co_u32_e32 v4, vcc, 0, v4, vcc
	v_fma_f16 v10, v32, v6, v10
	v_cmp_gt_i32_e32 vcc, 31, v7
	v_cvt_f32_f16_e32 v10, v10
	v_cndmask_b32_e32 v4, v0, v4, vcc
	v_cmp_ne_u32_e32 vcc, 0, v3
	v_cndmask_b32_e64 v3, 0, 1, vcc
	v_lshl_or_b32 v3, v3, 9, v0
	v_cmp_eq_u32_e32 vcc, s10, v7
	v_cndmask_b32_e32 v7, v4, v3, vcc
	v_cvt_f64_f32_e32 v[3:4], v10
	v_lshrrev_b32_e32 v8, 16, v8
	v_and_or_b32 v7, v8, s11, v7
	v_and_b32_e32 v5, 0xffff, v5
	v_mul_f64 v[3:4], v[3:4], s[2:3]
	v_lshl_or_b32 v5, v7, 16, v5
	v_mov_b32_e32 v7, s4
	v_add_co_u32_e32 v1, vcc, s5, v1
	v_addc_co_u32_e32 v2, vcc, v2, v7, vcc
	global_store_dword v[1:2], v5, off
	v_and_or_b32 v3, v4, s6, v3
	v_cmp_ne_u32_e32 vcc, 0, v3
	v_cndmask_b32_e64 v3, 0, 1, vcc
	v_lshrrev_b32_e32 v5, 8, v4
	v_bfe_u32 v7, v4, 20, 11
	v_and_or_b32 v3, v5, s7, v3
	v_sub_u32_e32 v8, 0x3f1, v7
	v_or_b32_e32 v5, 0x1000, v3
	v_med3_i32 v8, v8, 0, 13
	v_lshrrev_b32_e32 v10, v8, v5
	v_lshlrev_b32_e32 v8, v8, v10
	v_mul_f16_sdwa v6, v32, v6 dst_sel:DWORD dst_unused:UNUSED_PAD src0_sel:WORD_1 src1_sel:DWORD
	v_cmp_ne_u32_e32 vcc, v8, v5
	v_fma_f16 v6, v32, v9, -v6
	v_cndmask_b32_e64 v5, 0, 1, vcc
	v_add_u32_e32 v7, 0xfffffc10, v7
	v_cvt_f32_f16_e32 v6, v6
	v_or_b32_e32 v5, v10, v5
	v_lshl_or_b32 v8, v7, 12, v3
	v_cmp_gt_i32_e32 vcc, 1, v7
	v_cndmask_b32_e32 v5, v8, v5, vcc
	v_and_b32_e32 v8, 7, v5
	v_cmp_lt_i32_e32 vcc, 5, v8
	v_cmp_eq_u32_e64 s[0:1], 3, v8
	v_lshrrev_b32_e32 v8, 2, v5
	v_cvt_f64_f32_e32 v[5:6], v6
	s_or_b64 vcc, s[0:1], vcc
	v_addc_co_u32_e32 v8, vcc, 0, v8, vcc
	v_mul_f64 v[5:6], v[5:6], s[2:3]
	v_cmp_gt_i32_e32 vcc, 31, v7
	v_cndmask_b32_e32 v8, v0, v8, vcc
	v_cmp_ne_u32_e32 vcc, 0, v3
	v_cndmask_b32_e64 v3, 0, 1, vcc
	v_lshl_or_b32 v3, v3, 9, v0
	v_cmp_eq_u32_e32 vcc, s10, v7
	v_cndmask_b32_e32 v3, v8, v3, vcc
	v_lshrrev_b32_e32 v4, 16, v4
	v_and_or_b32 v9, v4, s11, v3
	v_and_or_b32 v3, v6, s6, v5
	v_cmp_ne_u32_e32 vcc, 0, v3
	v_cndmask_b32_e64 v3, 0, 1, vcc
	v_lshrrev_b32_e32 v4, 8, v6
	v_and_or_b32 v5, v4, s7, v3
	v_bfe_u32 v4, v6, 20, 11
	v_sub_u32_e32 v7, 0x3f1, v4
	v_or_b32_e32 v3, 0x1000, v5
	v_med3_i32 v7, v7, 0, 13
	v_lshrrev_b32_e32 v8, v7, v3
	v_lshlrev_b32_e32 v7, v7, v8
	v_cmp_ne_u32_e32 vcc, v7, v3
	v_cndmask_b32_e64 v3, 0, 1, vcc
	v_add_u32_e32 v7, 0xfffffc10, v4
	v_or_b32_e32 v3, v8, v3
	v_lshl_or_b32 v4, v7, 12, v5
	v_cmp_gt_i32_e32 vcc, 1, v7
	v_cndmask_b32_e32 v3, v4, v3, vcc
	v_and_b32_e32 v4, 7, v3
	v_cmp_lt_i32_e32 vcc, 5, v4
	v_cmp_eq_u32_e64 s[0:1], 3, v4
	v_lshrrev_b32_e32 v3, 2, v3
	s_or_b64 vcc, s[0:1], vcc
	v_addc_co_u32_e32 v8, vcc, 0, v3, vcc
	v_add_u32_e32 v3, 0x200, v31
	ds_read2_b32 v[3:4], v3 offset0:112 offset1:142
	v_cmp_gt_i32_e32 vcc, 31, v7
	v_cndmask_b32_e32 v8, v0, v8, vcc
	v_cmp_ne_u32_e32 vcc, 0, v5
	v_cndmask_b32_e64 v5, 0, 1, vcc
	s_waitcnt lgkmcnt(0)
	v_lshrrev_b32_e32 v10, 16, v3
	v_mul_f16_sdwa v11, v30, v10 dst_sel:DWORD dst_unused:UNUSED_PAD src0_sel:WORD_1 src1_sel:DWORD
	v_fma_f16 v11, v30, v3, v11
	v_cvt_f32_f16_e32 v11, v11
	v_lshl_or_b32 v5, v5, 9, v0
	v_cmp_eq_u32_e32 vcc, s10, v7
	v_cndmask_b32_e32 v5, v8, v5, vcc
	v_cvt_f64_f32_e32 v[7:8], v11
	v_lshrrev_b32_e32 v6, 16, v6
	v_and_or_b32 v11, v6, s11, v5
	v_add_co_u32_e32 v1, vcc, s5, v1
	v_mul_f64 v[5:6], v[7:8], s[2:3]
	v_mov_b32_e32 v8, s4
	v_and_b32_e32 v9, 0xffff, v9
	v_addc_co_u32_e32 v2, vcc, v2, v8, vcc
	v_lshl_or_b32 v7, v11, 16, v9
	global_store_dword v[1:2], v7, off
	v_mul_f16_sdwa v3, v30, v3 dst_sel:DWORD dst_unused:UNUSED_PAD src0_sel:WORD_1 src1_sel:DWORD
	v_and_or_b32 v5, v6, s6, v5
	v_cmp_ne_u32_e32 vcc, 0, v5
	v_cndmask_b32_e64 v5, 0, 1, vcc
	v_lshrrev_b32_e32 v7, 8, v6
	v_bfe_u32 v8, v6, 20, 11
	v_and_or_b32 v5, v7, s7, v5
	v_sub_u32_e32 v9, 0x3f1, v8
	v_or_b32_e32 v7, 0x1000, v5
	v_med3_i32 v9, v9, 0, 13
	v_lshrrev_b32_e32 v11, v9, v7
	v_lshlrev_b32_e32 v9, v9, v11
	v_cmp_ne_u32_e32 vcc, v9, v7
	v_fma_f16 v3, v30, v10, -v3
	v_cndmask_b32_e64 v7, 0, 1, vcc
	v_add_u32_e32 v9, 0xfffffc10, v8
	v_cvt_f32_f16_e32 v3, v3
	v_or_b32_e32 v7, v11, v7
	v_lshl_or_b32 v8, v9, 12, v5
	v_cmp_gt_i32_e32 vcc, 1, v9
	v_cndmask_b32_e32 v7, v8, v7, vcc
	v_and_b32_e32 v8, 7, v7
	v_cmp_lt_i32_e32 vcc, 5, v8
	v_cmp_eq_u32_e64 s[0:1], 3, v8
	v_lshrrev_b32_e32 v10, 2, v7
	v_cvt_f64_f32_e32 v[7:8], v3
	s_or_b64 vcc, s[0:1], vcc
	v_addc_co_u32_e32 v3, vcc, 0, v10, vcc
	v_mul_f64 v[7:8], v[7:8], s[2:3]
	v_cmp_gt_i32_e32 vcc, 31, v9
	v_cndmask_b32_e32 v3, v0, v3, vcc
	v_cmp_ne_u32_e32 vcc, 0, v5
	v_cndmask_b32_e64 v5, 0, 1, vcc
	v_lshl_or_b32 v5, v5, 9, v0
	v_cmp_eq_u32_e32 vcc, s10, v9
	v_cndmask_b32_e32 v3, v3, v5, vcc
	v_lshrrev_b32_e32 v5, 16, v6
	v_and_or_b32 v3, v5, s11, v3
	v_and_or_b32 v5, v8, s6, v7
	v_cmp_ne_u32_e32 vcc, 0, v5
	v_cndmask_b32_e64 v5, 0, 1, vcc
	v_lshrrev_b32_e32 v6, 8, v8
	v_bfe_u32 v7, v8, 20, 11
	v_and_or_b32 v5, v6, s7, v5
	v_sub_u32_e32 v9, 0x3f1, v7
	v_or_b32_e32 v6, 0x1000, v5
	v_med3_i32 v9, v9, 0, 13
	v_lshrrev_b32_e32 v10, v9, v6
	v_lshlrev_b32_e32 v9, v9, v10
	v_cmp_ne_u32_e32 vcc, v9, v6
	v_cndmask_b32_e64 v6, 0, 1, vcc
	v_add_u32_e32 v7, 0xfffffc10, v7
	v_or_b32_e32 v6, v10, v6
	v_lshl_or_b32 v9, v7, 12, v5
	v_cmp_gt_i32_e32 vcc, 1, v7
	v_cndmask_b32_e32 v6, v9, v6, vcc
	v_and_b32_e32 v9, 7, v6
	v_cmp_lt_i32_e32 vcc, 5, v9
	v_cmp_eq_u32_e64 s[0:1], 3, v9
	v_lshrrev_b32_e32 v9, 16, v4
	v_lshrrev_b32_e32 v6, 2, v6
	s_or_b64 vcc, s[0:1], vcc
	v_mul_f16_sdwa v10, v29, v9 dst_sel:DWORD dst_unused:UNUSED_PAD src0_sel:WORD_1 src1_sel:DWORD
	v_addc_co_u32_e32 v6, vcc, 0, v6, vcc
	v_fma_f16 v10, v29, v4, v10
	v_cmp_gt_i32_e32 vcc, 31, v7
	v_cvt_f32_f16_e32 v10, v10
	v_cndmask_b32_e32 v6, v0, v6, vcc
	v_cmp_ne_u32_e32 vcc, 0, v5
	v_cndmask_b32_e64 v5, 0, 1, vcc
	v_lshl_or_b32 v5, v5, 9, v0
	v_cmp_eq_u32_e32 vcc, s10, v7
	v_cndmask_b32_e32 v7, v6, v5, vcc
	v_cvt_f64_f32_e32 v[5:6], v10
	v_lshrrev_b32_e32 v8, 16, v8
	v_and_or_b32 v7, v8, s11, v7
	v_and_b32_e32 v3, 0xffff, v3
	v_mul_f64 v[5:6], v[5:6], s[2:3]
	v_lshl_or_b32 v3, v7, 16, v3
	v_mov_b32_e32 v7, s4
	v_add_co_u32_e32 v1, vcc, s5, v1
	v_addc_co_u32_e32 v2, vcc, v2, v7, vcc
	global_store_dword v[1:2], v3, off
	v_and_or_b32 v3, v6, s6, v5
	v_cmp_ne_u32_e32 vcc, 0, v3
	v_cndmask_b32_e64 v3, 0, 1, vcc
	v_lshrrev_b32_e32 v5, 8, v6
	v_bfe_u32 v7, v6, 20, 11
	v_and_or_b32 v5, v5, s7, v3
	v_sub_u32_e32 v8, 0x3f1, v7
	v_or_b32_e32 v3, 0x1000, v5
	v_med3_i32 v8, v8, 0, 13
	v_lshrrev_b32_e32 v10, v8, v3
	v_lshlrev_b32_e32 v8, v8, v10
	v_mul_f16_sdwa v4, v29, v4 dst_sel:DWORD dst_unused:UNUSED_PAD src0_sel:WORD_1 src1_sel:DWORD
	v_cmp_ne_u32_e32 vcc, v8, v3
	v_fma_f16 v4, v29, v9, -v4
	v_cndmask_b32_e64 v3, 0, 1, vcc
	v_add_u32_e32 v7, 0xfffffc10, v7
	v_cvt_f32_f16_e32 v4, v4
	v_or_b32_e32 v3, v10, v3
	v_lshl_or_b32 v8, v7, 12, v5
	v_cmp_gt_i32_e32 vcc, 1, v7
	v_cndmask_b32_e32 v3, v8, v3, vcc
	v_and_b32_e32 v8, 7, v3
	v_cmp_lt_i32_e32 vcc, 5, v8
	v_cmp_eq_u32_e64 s[0:1], 3, v8
	v_lshrrev_b32_e32 v8, 2, v3
	v_cvt_f64_f32_e32 v[3:4], v4
	s_or_b64 vcc, s[0:1], vcc
	v_addc_co_u32_e32 v8, vcc, 0, v8, vcc
	v_mul_f64 v[3:4], v[3:4], s[2:3]
	v_cmp_gt_i32_e32 vcc, 31, v7
	v_cndmask_b32_e32 v8, v0, v8, vcc
	v_cmp_ne_u32_e32 vcc, 0, v5
	v_cndmask_b32_e64 v5, 0, 1, vcc
	v_lshl_or_b32 v5, v5, 9, v0
	v_cmp_eq_u32_e32 vcc, s10, v7
	v_cndmask_b32_e32 v5, v8, v5, vcc
	v_and_or_b32 v3, v4, s6, v3
	v_lshrrev_b32_e32 v6, 16, v6
	v_cmp_ne_u32_e32 vcc, 0, v3
	v_and_or_b32 v5, v6, s11, v5
	v_cndmask_b32_e64 v3, 0, 1, vcc
	v_lshrrev_b32_e32 v6, 8, v4
	v_bfe_u32 v7, v4, 20, 11
	v_and_or_b32 v3, v6, s7, v3
	v_sub_u32_e32 v8, 0x3f1, v7
	v_or_b32_e32 v6, 0x1000, v3
	v_med3_i32 v8, v8, 0, 13
	v_lshrrev_b32_e32 v9, v8, v6
	v_lshlrev_b32_e32 v8, v8, v9
	v_cmp_ne_u32_e32 vcc, v8, v6
	v_cndmask_b32_e64 v6, 0, 1, vcc
	v_add_u32_e32 v7, 0xfffffc10, v7
	v_or_b32_e32 v6, v9, v6
	v_lshl_or_b32 v8, v7, 12, v3
	v_cmp_gt_i32_e32 vcc, 1, v7
	v_cndmask_b32_e32 v6, v8, v6, vcc
	v_and_b32_e32 v8, 7, v6
	v_cmp_lt_i32_e32 vcc, 5, v8
	v_cmp_eq_u32_e64 s[0:1], 3, v8
	v_lshrrev_b32_e32 v6, 2, v6
	s_or_b64 vcc, s[0:1], vcc
	v_addc_co_u32_e32 v6, vcc, 0, v6, vcc
	v_cmp_gt_i32_e32 vcc, 31, v7
	v_cndmask_b32_e32 v6, v0, v6, vcc
	v_cmp_ne_u32_e32 vcc, 0, v3
	v_cndmask_b32_e64 v3, 0, 1, vcc
	v_lshl_or_b32 v0, v3, 9, v0
	v_cmp_eq_u32_e32 vcc, s10, v7
	v_cndmask_b32_e32 v0, v6, v0, vcc
	v_lshrrev_b32_e32 v3, 16, v4
	v_and_or_b32 v0, v3, s11, v0
	v_and_b32_e32 v3, 0xffff, v5
	v_lshl_or_b32 v3, v0, 16, v3
	v_mov_b32_e32 v4, s4
	v_add_co_u32_e32 v0, vcc, s5, v1
	v_addc_co_u32_e32 v1, vcc, v2, v4, vcc
	global_store_dword v[0:1], v3, off
.LBB0_10:
	s_endpgm
	.section	.rodata,"a",@progbits
	.p2align	6, 0x0
	.amdhsa_kernel bluestein_single_fwd_len300_dim1_half_op_CI_CI
		.amdhsa_group_segment_fixed_size 2400
		.amdhsa_private_segment_fixed_size 0
		.amdhsa_kernarg_size 104
		.amdhsa_user_sgpr_count 6
		.amdhsa_user_sgpr_private_segment_buffer 1
		.amdhsa_user_sgpr_dispatch_ptr 0
		.amdhsa_user_sgpr_queue_ptr 0
		.amdhsa_user_sgpr_kernarg_segment_ptr 1
		.amdhsa_user_sgpr_dispatch_id 0
		.amdhsa_user_sgpr_flat_scratch_init 0
		.amdhsa_user_sgpr_private_segment_size 0
		.amdhsa_uses_dynamic_stack 0
		.amdhsa_system_sgpr_private_segment_wavefront_offset 0
		.amdhsa_system_sgpr_workgroup_id_x 1
		.amdhsa_system_sgpr_workgroup_id_y 0
		.amdhsa_system_sgpr_workgroup_id_z 0
		.amdhsa_system_sgpr_workgroup_info 0
		.amdhsa_system_vgpr_workitem_id 0
		.amdhsa_next_free_vgpr 70
		.amdhsa_next_free_sgpr 20
		.amdhsa_reserve_vcc 1
		.amdhsa_reserve_flat_scratch 0
		.amdhsa_float_round_mode_32 0
		.amdhsa_float_round_mode_16_64 0
		.amdhsa_float_denorm_mode_32 3
		.amdhsa_float_denorm_mode_16_64 3
		.amdhsa_dx10_clamp 1
		.amdhsa_ieee_mode 1
		.amdhsa_fp16_overflow 0
		.amdhsa_exception_fp_ieee_invalid_op 0
		.amdhsa_exception_fp_denorm_src 0
		.amdhsa_exception_fp_ieee_div_zero 0
		.amdhsa_exception_fp_ieee_overflow 0
		.amdhsa_exception_fp_ieee_underflow 0
		.amdhsa_exception_fp_ieee_inexact 0
		.amdhsa_exception_int_div_zero 0
	.end_amdhsa_kernel
	.text
.Lfunc_end0:
	.size	bluestein_single_fwd_len300_dim1_half_op_CI_CI, .Lfunc_end0-bluestein_single_fwd_len300_dim1_half_op_CI_CI
                                        ; -- End function
	.section	.AMDGPU.csdata,"",@progbits
; Kernel info:
; codeLenInByte = 14000
; NumSgprs: 24
; NumVgprs: 70
; ScratchSize: 0
; MemoryBound: 0
; FloatMode: 240
; IeeeMode: 1
; LDSByteSize: 2400 bytes/workgroup (compile time only)
; SGPRBlocks: 2
; VGPRBlocks: 17
; NumSGPRsForWavesPerEU: 24
; NumVGPRsForWavesPerEU: 70
; Occupancy: 3
; WaveLimiterHint : 1
; COMPUTE_PGM_RSRC2:SCRATCH_EN: 0
; COMPUTE_PGM_RSRC2:USER_SGPR: 6
; COMPUTE_PGM_RSRC2:TRAP_HANDLER: 0
; COMPUTE_PGM_RSRC2:TGID_X_EN: 1
; COMPUTE_PGM_RSRC2:TGID_Y_EN: 0
; COMPUTE_PGM_RSRC2:TGID_Z_EN: 0
; COMPUTE_PGM_RSRC2:TIDIG_COMP_CNT: 0
	.type	__hip_cuid_c17b365ade835eb4,@object ; @__hip_cuid_c17b365ade835eb4
	.section	.bss,"aw",@nobits
	.globl	__hip_cuid_c17b365ade835eb4
__hip_cuid_c17b365ade835eb4:
	.byte	0                               ; 0x0
	.size	__hip_cuid_c17b365ade835eb4, 1

	.ident	"AMD clang version 19.0.0git (https://github.com/RadeonOpenCompute/llvm-project roc-6.4.0 25133 c7fe45cf4b819c5991fe208aaa96edf142730f1d)"
	.section	".note.GNU-stack","",@progbits
	.addrsig
	.addrsig_sym __hip_cuid_c17b365ade835eb4
	.amdgpu_metadata
---
amdhsa.kernels:
  - .args:
      - .actual_access:  read_only
        .address_space:  global
        .offset:         0
        .size:           8
        .value_kind:     global_buffer
      - .actual_access:  read_only
        .address_space:  global
        .offset:         8
        .size:           8
        .value_kind:     global_buffer
      - .actual_access:  read_only
        .address_space:  global
        .offset:         16
        .size:           8
        .value_kind:     global_buffer
      - .actual_access:  read_only
        .address_space:  global
        .offset:         24
        .size:           8
        .value_kind:     global_buffer
      - .actual_access:  read_only
        .address_space:  global
        .offset:         32
        .size:           8
        .value_kind:     global_buffer
      - .offset:         40
        .size:           8
        .value_kind:     by_value
      - .address_space:  global
        .offset:         48
        .size:           8
        .value_kind:     global_buffer
      - .address_space:  global
        .offset:         56
        .size:           8
        .value_kind:     global_buffer
      - .address_space:  global
        .offset:         64
        .size:           8
        .value_kind:     global_buffer
      - .address_space:  global
        .offset:         72
        .size:           8
        .value_kind:     global_buffer
      - .offset:         80
        .size:           4
        .value_kind:     by_value
      - .address_space:  global
        .offset:         88
        .size:           8
        .value_kind:     global_buffer
      - .address_space:  global
        .offset:         96
        .size:           8
        .value_kind:     global_buffer
    .group_segment_fixed_size: 2400
    .kernarg_segment_align: 8
    .kernarg_segment_size: 104
    .language:       OpenCL C
    .language_version:
      - 2
      - 0
    .max_flat_workgroup_size: 60
    .name:           bluestein_single_fwd_len300_dim1_half_op_CI_CI
    .private_segment_fixed_size: 0
    .sgpr_count:     24
    .sgpr_spill_count: 0
    .symbol:         bluestein_single_fwd_len300_dim1_half_op_CI_CI.kd
    .uniform_work_group_size: 1
    .uses_dynamic_stack: false
    .vgpr_count:     70
    .vgpr_spill_count: 0
    .wavefront_size: 64
amdhsa.target:   amdgcn-amd-amdhsa--gfx906
amdhsa.version:
  - 1
  - 2
...

	.end_amdgpu_metadata
